;; amdgpu-corpus repo=ROCm/rocFFT kind=compiled arch=gfx1100 opt=O3
	.text
	.amdgcn_target "amdgcn-amd-amdhsa--gfx1100"
	.amdhsa_code_object_version 6
	.protected	fft_rtc_back_len1701_factors_3_3_3_3_3_7_wgs_63_tpt_63_halfLds_half_ip_CI_unitstride_sbrr_dirReg ; -- Begin function fft_rtc_back_len1701_factors_3_3_3_3_3_7_wgs_63_tpt_63_halfLds_half_ip_CI_unitstride_sbrr_dirReg
	.globl	fft_rtc_back_len1701_factors_3_3_3_3_3_7_wgs_63_tpt_63_halfLds_half_ip_CI_unitstride_sbrr_dirReg
	.p2align	8
	.type	fft_rtc_back_len1701_factors_3_3_3_3_3_7_wgs_63_tpt_63_halfLds_half_ip_CI_unitstride_sbrr_dirReg,@function
fft_rtc_back_len1701_factors_3_3_3_3_3_7_wgs_63_tpt_63_halfLds_half_ip_CI_unitstride_sbrr_dirReg: ; @fft_rtc_back_len1701_factors_3_3_3_3_3_7_wgs_63_tpt_63_halfLds_half_ip_CI_unitstride_sbrr_dirReg
; %bb.0:
	s_clause 0x2
	s_load_b128 s[4:7], s[0:1], 0x0
	s_load_b64 s[8:9], s[0:1], 0x50
	s_load_b64 s[10:11], s[0:1], 0x18
	v_mul_u32_u24_e32 v1, 0x411, v0
	v_mov_b32_e32 v3, 0
	v_mov_b32_e32 v4, 0
	s_delay_alu instid0(VALU_DEP_3) | instskip(SKIP_1) | instid1(VALU_DEP_1)
	v_lshrrev_b32_e32 v2, 16, v1
	v_mov_b32_e32 v1, 0
	v_dual_mov_b32 v6, v1 :: v_dual_add_nc_u32 v5, s15, v2
	s_waitcnt lgkmcnt(0)
	v_cmp_lt_u64_e64 s2, s[6:7], 2
	s_delay_alu instid0(VALU_DEP_1)
	s_and_b32 vcc_lo, exec_lo, s2
	s_cbranch_vccnz .LBB0_8
; %bb.1:
	s_load_b64 s[2:3], s[0:1], 0x10
	v_mov_b32_e32 v3, 0
	s_add_u32 s12, s10, 8
	v_mov_b32_e32 v4, 0
	s_addc_u32 s13, s11, 0
	s_mov_b64 s[16:17], 1
	s_waitcnt lgkmcnt(0)
	s_add_u32 s14, s2, 8
	s_addc_u32 s15, s3, 0
.LBB0_2:                                ; =>This Inner Loop Header: Depth=1
	s_load_b64 s[18:19], s[14:15], 0x0
                                        ; implicit-def: $vgpr7_vgpr8
	s_mov_b32 s2, exec_lo
	s_waitcnt lgkmcnt(0)
	v_or_b32_e32 v2, s19, v6
	s_delay_alu instid0(VALU_DEP_1)
	v_cmpx_ne_u64_e32 0, v[1:2]
	s_xor_b32 s3, exec_lo, s2
	s_cbranch_execz .LBB0_4
; %bb.3:                                ;   in Loop: Header=BB0_2 Depth=1
	v_cvt_f32_u32_e32 v2, s18
	v_cvt_f32_u32_e32 v7, s19
	s_sub_u32 s2, 0, s18
	s_subb_u32 s20, 0, s19
	s_delay_alu instid0(VALU_DEP_1) | instskip(NEXT) | instid1(VALU_DEP_1)
	v_fmac_f32_e32 v2, 0x4f800000, v7
	v_rcp_f32_e32 v2, v2
	s_waitcnt_depctr 0xfff
	v_mul_f32_e32 v2, 0x5f7ffffc, v2
	s_delay_alu instid0(VALU_DEP_1) | instskip(NEXT) | instid1(VALU_DEP_1)
	v_mul_f32_e32 v7, 0x2f800000, v2
	v_trunc_f32_e32 v7, v7
	s_delay_alu instid0(VALU_DEP_1) | instskip(SKIP_1) | instid1(VALU_DEP_2)
	v_fmac_f32_e32 v2, 0xcf800000, v7
	v_cvt_u32_f32_e32 v7, v7
	v_cvt_u32_f32_e32 v2, v2
	s_delay_alu instid0(VALU_DEP_2) | instskip(NEXT) | instid1(VALU_DEP_2)
	v_mul_lo_u32 v8, s2, v7
	v_mul_hi_u32 v9, s2, v2
	v_mul_lo_u32 v10, s20, v2
	s_delay_alu instid0(VALU_DEP_2) | instskip(SKIP_1) | instid1(VALU_DEP_2)
	v_add_nc_u32_e32 v8, v9, v8
	v_mul_lo_u32 v9, s2, v2
	v_add_nc_u32_e32 v8, v8, v10
	s_delay_alu instid0(VALU_DEP_2) | instskip(NEXT) | instid1(VALU_DEP_2)
	v_mul_hi_u32 v10, v2, v9
	v_mul_lo_u32 v11, v2, v8
	v_mul_hi_u32 v12, v2, v8
	v_mul_hi_u32 v13, v7, v9
	v_mul_lo_u32 v9, v7, v9
	v_mul_hi_u32 v14, v7, v8
	v_mul_lo_u32 v8, v7, v8
	v_add_co_u32 v10, vcc_lo, v10, v11
	v_add_co_ci_u32_e32 v11, vcc_lo, 0, v12, vcc_lo
	s_delay_alu instid0(VALU_DEP_2) | instskip(NEXT) | instid1(VALU_DEP_2)
	v_add_co_u32 v9, vcc_lo, v10, v9
	v_add_co_ci_u32_e32 v9, vcc_lo, v11, v13, vcc_lo
	v_add_co_ci_u32_e32 v10, vcc_lo, 0, v14, vcc_lo
	s_delay_alu instid0(VALU_DEP_2) | instskip(NEXT) | instid1(VALU_DEP_2)
	v_add_co_u32 v8, vcc_lo, v9, v8
	v_add_co_ci_u32_e32 v9, vcc_lo, 0, v10, vcc_lo
	s_delay_alu instid0(VALU_DEP_2) | instskip(NEXT) | instid1(VALU_DEP_2)
	v_add_co_u32 v2, vcc_lo, v2, v8
	v_add_co_ci_u32_e32 v7, vcc_lo, v7, v9, vcc_lo
	s_delay_alu instid0(VALU_DEP_2) | instskip(SKIP_1) | instid1(VALU_DEP_3)
	v_mul_hi_u32 v8, s2, v2
	v_mul_lo_u32 v10, s20, v2
	v_mul_lo_u32 v9, s2, v7
	s_delay_alu instid0(VALU_DEP_1) | instskip(SKIP_1) | instid1(VALU_DEP_2)
	v_add_nc_u32_e32 v8, v8, v9
	v_mul_lo_u32 v9, s2, v2
	v_add_nc_u32_e32 v8, v8, v10
	s_delay_alu instid0(VALU_DEP_2) | instskip(NEXT) | instid1(VALU_DEP_2)
	v_mul_hi_u32 v10, v2, v9
	v_mul_lo_u32 v11, v2, v8
	v_mul_hi_u32 v12, v2, v8
	v_mul_hi_u32 v13, v7, v9
	v_mul_lo_u32 v9, v7, v9
	v_mul_hi_u32 v14, v7, v8
	v_mul_lo_u32 v8, v7, v8
	v_add_co_u32 v10, vcc_lo, v10, v11
	v_add_co_ci_u32_e32 v11, vcc_lo, 0, v12, vcc_lo
	s_delay_alu instid0(VALU_DEP_2) | instskip(NEXT) | instid1(VALU_DEP_2)
	v_add_co_u32 v9, vcc_lo, v10, v9
	v_add_co_ci_u32_e32 v9, vcc_lo, v11, v13, vcc_lo
	v_add_co_ci_u32_e32 v10, vcc_lo, 0, v14, vcc_lo
	s_delay_alu instid0(VALU_DEP_2) | instskip(NEXT) | instid1(VALU_DEP_2)
	v_add_co_u32 v8, vcc_lo, v9, v8
	v_add_co_ci_u32_e32 v9, vcc_lo, 0, v10, vcc_lo
	s_delay_alu instid0(VALU_DEP_2) | instskip(NEXT) | instid1(VALU_DEP_2)
	v_add_co_u32 v2, vcc_lo, v2, v8
	v_add_co_ci_u32_e32 v13, vcc_lo, v7, v9, vcc_lo
	s_delay_alu instid0(VALU_DEP_2) | instskip(SKIP_1) | instid1(VALU_DEP_3)
	v_mul_hi_u32 v14, v5, v2
	v_mad_u64_u32 v[9:10], null, v6, v2, 0
	v_mad_u64_u32 v[7:8], null, v5, v13, 0
	;; [unrolled: 1-line block ×3, first 2 shown]
	s_delay_alu instid0(VALU_DEP_2) | instskip(NEXT) | instid1(VALU_DEP_3)
	v_add_co_u32 v2, vcc_lo, v14, v7
	v_add_co_ci_u32_e32 v7, vcc_lo, 0, v8, vcc_lo
	s_delay_alu instid0(VALU_DEP_2) | instskip(NEXT) | instid1(VALU_DEP_2)
	v_add_co_u32 v2, vcc_lo, v2, v9
	v_add_co_ci_u32_e32 v2, vcc_lo, v7, v10, vcc_lo
	v_add_co_ci_u32_e32 v7, vcc_lo, 0, v12, vcc_lo
	s_delay_alu instid0(VALU_DEP_2) | instskip(NEXT) | instid1(VALU_DEP_2)
	v_add_co_u32 v2, vcc_lo, v2, v11
	v_add_co_ci_u32_e32 v9, vcc_lo, 0, v7, vcc_lo
	s_delay_alu instid0(VALU_DEP_2) | instskip(SKIP_1) | instid1(VALU_DEP_3)
	v_mul_lo_u32 v10, s19, v2
	v_mad_u64_u32 v[7:8], null, s18, v2, 0
	v_mul_lo_u32 v11, s18, v9
	s_delay_alu instid0(VALU_DEP_2) | instskip(NEXT) | instid1(VALU_DEP_2)
	v_sub_co_u32 v7, vcc_lo, v5, v7
	v_add3_u32 v8, v8, v11, v10
	s_delay_alu instid0(VALU_DEP_1) | instskip(NEXT) | instid1(VALU_DEP_1)
	v_sub_nc_u32_e32 v10, v6, v8
	v_subrev_co_ci_u32_e64 v10, s2, s19, v10, vcc_lo
	v_add_co_u32 v11, s2, v2, 2
	s_delay_alu instid0(VALU_DEP_1) | instskip(SKIP_3) | instid1(VALU_DEP_3)
	v_add_co_ci_u32_e64 v12, s2, 0, v9, s2
	v_sub_co_u32 v13, s2, v7, s18
	v_sub_co_ci_u32_e32 v8, vcc_lo, v6, v8, vcc_lo
	v_subrev_co_ci_u32_e64 v10, s2, 0, v10, s2
	v_cmp_le_u32_e32 vcc_lo, s18, v13
	s_delay_alu instid0(VALU_DEP_3) | instskip(SKIP_1) | instid1(VALU_DEP_4)
	v_cmp_eq_u32_e64 s2, s19, v8
	v_cndmask_b32_e64 v13, 0, -1, vcc_lo
	v_cmp_le_u32_e32 vcc_lo, s19, v10
	v_cndmask_b32_e64 v14, 0, -1, vcc_lo
	v_cmp_le_u32_e32 vcc_lo, s18, v7
	;; [unrolled: 2-line block ×3, first 2 shown]
	v_cndmask_b32_e64 v15, 0, -1, vcc_lo
	v_cmp_eq_u32_e32 vcc_lo, s19, v10
	s_delay_alu instid0(VALU_DEP_2) | instskip(SKIP_3) | instid1(VALU_DEP_3)
	v_cndmask_b32_e64 v7, v15, v7, s2
	v_cndmask_b32_e32 v10, v14, v13, vcc_lo
	v_add_co_u32 v13, vcc_lo, v2, 1
	v_add_co_ci_u32_e32 v14, vcc_lo, 0, v9, vcc_lo
	v_cmp_ne_u32_e32 vcc_lo, 0, v10
	s_delay_alu instid0(VALU_DEP_2) | instskip(NEXT) | instid1(VALU_DEP_4)
	v_cndmask_b32_e32 v8, v14, v12, vcc_lo
	v_cndmask_b32_e32 v10, v13, v11, vcc_lo
	v_cmp_ne_u32_e32 vcc_lo, 0, v7
	s_delay_alu instid0(VALU_DEP_2)
	v_dual_cndmask_b32 v7, v2, v10 :: v_dual_cndmask_b32 v8, v9, v8
.LBB0_4:                                ;   in Loop: Header=BB0_2 Depth=1
	s_and_not1_saveexec_b32 s2, s3
	s_cbranch_execz .LBB0_6
; %bb.5:                                ;   in Loop: Header=BB0_2 Depth=1
	v_cvt_f32_u32_e32 v2, s18
	s_sub_i32 s3, 0, s18
	s_delay_alu instid0(VALU_DEP_1) | instskip(SKIP_2) | instid1(VALU_DEP_1)
	v_rcp_iflag_f32_e32 v2, v2
	s_waitcnt_depctr 0xfff
	v_mul_f32_e32 v2, 0x4f7ffffe, v2
	v_cvt_u32_f32_e32 v2, v2
	s_delay_alu instid0(VALU_DEP_1) | instskip(NEXT) | instid1(VALU_DEP_1)
	v_mul_lo_u32 v7, s3, v2
	v_mul_hi_u32 v7, v2, v7
	s_delay_alu instid0(VALU_DEP_1) | instskip(NEXT) | instid1(VALU_DEP_1)
	v_add_nc_u32_e32 v2, v2, v7
	v_mul_hi_u32 v2, v5, v2
	s_delay_alu instid0(VALU_DEP_1) | instskip(SKIP_1) | instid1(VALU_DEP_2)
	v_mul_lo_u32 v7, v2, s18
	v_add_nc_u32_e32 v8, 1, v2
	v_sub_nc_u32_e32 v7, v5, v7
	s_delay_alu instid0(VALU_DEP_1) | instskip(SKIP_1) | instid1(VALU_DEP_2)
	v_subrev_nc_u32_e32 v9, s18, v7
	v_cmp_le_u32_e32 vcc_lo, s18, v7
	v_dual_cndmask_b32 v7, v7, v9 :: v_dual_cndmask_b32 v2, v2, v8
	s_delay_alu instid0(VALU_DEP_1) | instskip(NEXT) | instid1(VALU_DEP_2)
	v_cmp_le_u32_e32 vcc_lo, s18, v7
	v_add_nc_u32_e32 v8, 1, v2
	s_delay_alu instid0(VALU_DEP_1)
	v_dual_cndmask_b32 v7, v2, v8 :: v_dual_mov_b32 v8, v1
.LBB0_6:                                ;   in Loop: Header=BB0_2 Depth=1
	s_or_b32 exec_lo, exec_lo, s2
	s_load_b64 s[2:3], s[12:13], 0x0
	s_delay_alu instid0(VALU_DEP_1) | instskip(NEXT) | instid1(VALU_DEP_2)
	v_mul_lo_u32 v2, v8, s18
	v_mul_lo_u32 v11, v7, s19
	v_mad_u64_u32 v[9:10], null, v7, s18, 0
	s_add_u32 s16, s16, 1
	s_addc_u32 s17, s17, 0
	s_add_u32 s12, s12, 8
	s_addc_u32 s13, s13, 0
	;; [unrolled: 2-line block ×3, first 2 shown]
	s_delay_alu instid0(VALU_DEP_1) | instskip(SKIP_1) | instid1(VALU_DEP_2)
	v_add3_u32 v2, v10, v11, v2
	v_sub_co_u32 v9, vcc_lo, v5, v9
	v_sub_co_ci_u32_e32 v2, vcc_lo, v6, v2, vcc_lo
	s_waitcnt lgkmcnt(0)
	s_delay_alu instid0(VALU_DEP_2) | instskip(NEXT) | instid1(VALU_DEP_2)
	v_mul_lo_u32 v10, s3, v9
	v_mul_lo_u32 v2, s2, v2
	v_mad_u64_u32 v[5:6], null, s2, v9, v[3:4]
	v_cmp_ge_u64_e64 s2, s[16:17], s[6:7]
	s_delay_alu instid0(VALU_DEP_1) | instskip(NEXT) | instid1(VALU_DEP_2)
	s_and_b32 vcc_lo, exec_lo, s2
	v_add3_u32 v4, v10, v6, v2
	s_delay_alu instid0(VALU_DEP_3)
	v_mov_b32_e32 v3, v5
	s_cbranch_vccnz .LBB0_9
; %bb.7:                                ;   in Loop: Header=BB0_2 Depth=1
	v_dual_mov_b32 v5, v7 :: v_dual_mov_b32 v6, v8
	s_branch .LBB0_2
.LBB0_8:
	v_dual_mov_b32 v8, v6 :: v_dual_mov_b32 v7, v5
.LBB0_9:
	s_lshl_b64 s[2:3], s[6:7], 3
                                        ; implicit-def: $vgpr53
                                        ; implicit-def: $vgpr39
                                        ; implicit-def: $vgpr55
                                        ; implicit-def: $vgpr52
                                        ; implicit-def: $vgpr51
                                        ; implicit-def: $vgpr34
                                        ; implicit-def: $vgpr48
                                        ; implicit-def: $vgpr32
                                        ; implicit-def: $vgpr49
                                        ; implicit-def: $vgpr45
                                        ; implicit-def: $vgpr9
                                        ; implicit-def: $vgpr13
                                        ; implicit-def: $vgpr47
                                        ; implicit-def: $vgpr42
                                        ; implicit-def: $vgpr44
                                        ; implicit-def: $vgpr40
                                        ; implicit-def: $vgpr14
                                        ; implicit-def: $vgpr41
                                        ; implicit-def: $vgpr26
                                        ; implicit-def: $vgpr15
                                        ; implicit-def: $vgpr17
                                        ; implicit-def: $vgpr29
                                        ; implicit-def: $vgpr22
                                        ; implicit-def: $vgpr30
                                        ; implicit-def: $vgpr24
                                        ; implicit-def: $vgpr27
                                        ; implicit-def: $vgpr19
                                        ; implicit-def: $vgpr25
                                        ; implicit-def: $vgpr23
                                        ; implicit-def: $vgpr21
                                        ; implicit-def: $vgpr36
                                        ; implicit-def: $vgpr31
                                        ; implicit-def: $vgpr35
                                        ; implicit-def: $vgpr28
                                        ; implicit-def: $vgpr43
                                        ; implicit-def: $vgpr37
                                        ; implicit-def: $vgpr46
                                        ; implicit-def: $vgpr33
                                        ; implicit-def: $vgpr10
                                        ; implicit-def: $vgpr20
                                        ; implicit-def: $vgpr50
                                        ; implicit-def: $vgpr38
                                        ; implicit-def: $vgpr11
                                        ; implicit-def: $vgpr18
                                        ; implicit-def: $vgpr56
                                        ; implicit-def: $vgpr54
                                        ; implicit-def: $vgpr12
                                        ; implicit-def: $vgpr16
	s_delay_alu instid0(SALU_CYCLE_1)
	s_add_u32 s2, s10, s2
	s_addc_u32 s3, s11, s3
	s_load_b64 s[2:3], s[2:3], 0x0
	s_load_b64 s[0:1], s[0:1], 0x20
	s_waitcnt lgkmcnt(0)
	v_mul_lo_u32 v5, s2, v8
	v_mul_lo_u32 v6, s3, v7
	v_mad_u64_u32 v[1:2], null, s2, v7, v[3:4]
	v_mul_hi_u32 v3, 0x4104105, v0
	v_cmp_gt_u64_e32 vcc_lo, s[0:1], v[7:8]
                                        ; implicit-def: $vgpr8
                                        ; implicit-def: $vgpr7
	s_delay_alu instid0(VALU_DEP_3) | instskip(NEXT) | instid1(VALU_DEP_3)
	v_add3_u32 v2, v6, v2, v5
                                        ; implicit-def: $vgpr5
                                        ; implicit-def: $vgpr6
	v_mul_u32_u24_e32 v4, 63, v3
	s_delay_alu instid0(VALU_DEP_2) | instskip(NEXT) | instid1(VALU_DEP_2)
	v_lshlrev_b64 v[2:3], 2, v[1:2]
                                        ; implicit-def: $vgpr1
	v_sub_nc_u32_e32 v0, v0, v4
                                        ; implicit-def: $vgpr4
	s_and_saveexec_b32 s1, vcc_lo
	s_cbranch_execz .LBB0_11
; %bb.10:
	v_mov_b32_e32 v1, 0
	s_delay_alu instid0(VALU_DEP_1) | instskip(SKIP_1) | instid1(VALU_DEP_1)
	v_lshlrev_b64 v[4:5], 2, v[0:1]
	v_add_co_u32 v1, s0, s8, v2
	v_add_co_ci_u32_e64 v7, s0, s9, v3, s0
	s_delay_alu instid0(VALU_DEP_2) | instskip(NEXT) | instid1(VALU_DEP_1)
	v_add_co_u32 v6, s0, v1, v4
	v_add_co_ci_u32_e64 v7, s0, v7, v5, s0
	s_clause 0x1
	global_load_b32 v4, v[6:7], off
	global_load_b32 v39, v[6:7], off offset:2268
	v_add_co_u32 v8, s0, 0x1000, v6
	s_delay_alu instid0(VALU_DEP_1)
	v_add_co_ci_u32_e64 v9, s0, 0, v7, s0
	s_clause 0x18
	global_load_b32 v16, v[6:7], off offset:252
	global_load_b32 v34, v[6:7], off offset:2520
	;; [unrolled: 1-line block ×25, first 2 shown]
	s_waitcnt vmcnt(24)
	v_lshrrev_b32_e32 v12, 16, v16
	s_waitcnt vmcnt(23)
	v_lshrrev_b32_e32 v51, 16, v34
	;; [unrolled: 2-line block ×18, first 2 shown]
	v_lshrrev_b32_e32 v8, 16, v4
	v_lshrrev_b32_e32 v53, 16, v39
	s_waitcnt vmcnt(6)
	v_lshrrev_b32_e32 v47, 16, v42
	s_waitcnt vmcnt(5)
	;; [unrolled: 2-line block ×7, first 2 shown]
	v_lshrrev_b32_e32 v25, 16, v23
.LBB0_11:
	s_or_b32 exec_lo, exec_lo, s1
	v_add_f16_e32 v60, v53, v55
	v_add_f16_e32 v57, v39, v52
	;; [unrolled: 1-line block ×3, first 2 shown]
	v_sub_f16_e32 v59, v53, v55
	v_add_f16_e32 v53, v8, v53
	v_sub_f16_e32 v39, v39, v52
	v_fmac_f16_e32 v8, -0.5, v60
	v_add_f16_e32 v52, v58, v52
	v_fmac_f16_e32 v4, -0.5, v57
	v_add_f16_e32 v58, v53, v55
	v_add_f16_e32 v53, v34, v54
	v_fmamk_f16 v62, v39, 0x3aee, v8
	v_fmac_f16_e32 v8, 0xbaee, v39
	v_add_f16_e32 v39, v51, v56
	v_add_f16_e32 v55, v34, v16
	v_fmac_f16_e32 v16, -0.5, v53
	v_sub_f16_e32 v53, v51, v56
	v_add_f16_e32 v51, v51, v12
	v_fmac_f16_e32 v12, -0.5, v39
	v_sub_f16_e32 v34, v34, v54
	v_fmamk_f16 v57, v59, 0xbaee, v4
	v_fmamk_f16 v39, v53, 0xbaee, v16
	v_add_f16_e32 v56, v56, v51
	v_add_f16_e32 v51, v32, v45
	v_fmamk_f16 v64, v34, 0x3aee, v12
	v_fmac_f16_e32 v12, 0xbaee, v34
	v_add_f16_e32 v34, v48, v49
	v_fmac_f16_e32 v16, 0x3aee, v53
	v_add_f16_e32 v53, v32, v18
	v_fmac_f16_e32 v18, -0.5, v51
	v_sub_f16_e32 v51, v48, v49
	v_add_f16_e32 v48, v48, v11
	v_fmac_f16_e32 v11, -0.5, v34
	v_sub_f16_e32 v32, v32, v45
	v_add_f16_e32 v53, v45, v53
	v_fmac_f16_e32 v4, 0x3aee, v59
	v_add_f16_e32 v45, v49, v48
	v_add_f16_e32 v48, v42, v38
	v_fmamk_f16 v65, v32, 0x3aee, v11
	v_fmac_f16_e32 v11, 0xbaee, v32
	v_add_f16_e32 v32, v47, v50
	v_add_f16_e32 v49, v13, v38
	v_fmac_f16_e32 v13, -0.5, v48
	v_sub_f16_e32 v48, v50, v47
	v_add_f16_e32 v50, v9, v50
	v_fmac_f16_e32 v9, -0.5, v32
	v_sub_f16_e32 v32, v38, v42
	v_add_f16_e32 v49, v42, v49
	v_add_f16_e32 v42, v40, v33
	;; [unrolled: 1-line block ×4, first 2 shown]
	v_fmamk_f16 v67, v32, 0x3aee, v9
	v_fmac_f16_e32 v9, 0xbaee, v32
	v_add_f16_e32 v32, v44, v46
	v_fmac_f16_e32 v20, -0.5, v42
	v_sub_f16_e32 v42, v46, v44
	v_add_f16_e32 v46, v46, v10
	v_add_f16_e32 v47, v40, v47
	v_fmac_f16_e32 v10, -0.5, v32
	v_sub_f16_e32 v32, v33, v40
	v_add_f16_e32 v40, v26, v37
	v_fmamk_f16 v33, v42, 0xbaee, v20
	v_fmac_f16_e32 v20, 0x3aee, v42
	v_add_f16_e32 v42, v14, v26
	v_fmamk_f16 v68, v32, 0x3aee, v10
	v_fmac_f16_e32 v10, 0xbaee, v32
	v_add_f16_e32 v32, v41, v43
	v_fmac_f16_e32 v14, -0.5, v40
	v_sub_f16_e32 v40, v41, v43
	v_add_f16_e32 v41, v1, v41
	v_sub_f16_e32 v26, v26, v37
	v_fmac_f16_e32 v1, -0.5, v32
	v_add_f16_e32 v42, v42, v37
	v_add_f16_e32 v37, v31, v28
	v_fmamk_f16 v32, v40, 0xbaee, v14
	v_fmac_f16_e32 v14, 0x3aee, v40
	v_fmamk_f16 v74, v26, 0x3aee, v1
	v_fmac_f16_e32 v1, 0xbaee, v26
	v_add_f16_e32 v26, v36, v35
	v_add_f16_e32 v40, v15, v28
	v_fmac_f16_e32 v15, -0.5, v37
	v_sub_f16_e32 v37, v35, v36
	v_add_f16_e32 v35, v5, v35
	v_fmac_f16_e32 v5, -0.5, v26
	v_sub_f16_e32 v26, v28, v31
	v_add_f16_e32 v40, v31, v40
	v_add_f16_e32 v55, v54, v55
	;; [unrolled: 1-line block ×4, first 2 shown]
	v_fmamk_f16 v75, v26, 0x3aee, v5
	v_fmac_f16_e32 v5, 0xbaee, v26
	v_add_f16_e32 v26, v29, v30
	v_add_f16_e32 v36, v17, v22
	v_fmac_f16_e32 v17, -0.5, v35
	v_sub_f16_e32 v35, v29, v30
	v_add_f16_e32 v29, v6, v29
	v_fmac_f16_e32 v6, -0.5, v26
	v_sub_f16_e32 v22, v22, v24
	v_add_f16_e32 v36, v36, v24
	v_fmamk_f16 v24, v35, 0xbaee, v17
	v_fmac_f16_e32 v17, 0x3aee, v35
	v_add_f16_e32 v26, v29, v30
	v_add_f16_e32 v29, v19, v23
	v_fmamk_f16 v30, v22, 0x3aee, v6
	v_add_f16_e32 v35, v19, v21
	v_fmac_f16_e32 v6, 0xbaee, v22
	v_add_f16_e32 v22, v27, v25
	v_fmac_f16_e32 v21, -0.5, v29
	v_sub_f16_e32 v29, v27, v25
	v_add_f16_e32 v35, v23, v35
	v_add_f16_e32 v27, v27, v7
	v_fmac_f16_e32 v7, -0.5, v22
	v_sub_f16_e32 v19, v19, v23
	v_mad_u32_u24 v23, v0, 6, 0
	v_fmamk_f16 v34, v51, 0xbaee, v18
	v_fmac_f16_e32 v18, 0x3aee, v51
	v_fmamk_f16 v38, v48, 0xbaee, v13
	v_fmac_f16_e32 v13, 0x3aee, v48
	v_add_f16_e32 v25, v25, v27
	v_fmamk_f16 v27, v19, 0x3aee, v7
	v_fmac_f16_e32 v7, 0xbaee, v19
	v_add_nc_u32_e32 v19, 63, v0
	ds_store_b16 v23, v52
	ds_store_b16 v23, v57 offset:2
	ds_store_b16 v23, v4 offset:4
	;; [unrolled: 1-line block ×15, first 2 shown]
	v_lshlrev_b32_e32 v4, 1, v0
	v_fmamk_f16 v28, v37, 0xbaee, v15
	v_fmac_f16_e32 v15, 0x3aee, v37
	ds_store_b16 v23, v32 offset:1892
	ds_store_b16 v23, v14 offset:1894
	;; [unrolled: 1-line block ×8, first 2 shown]
	v_and_b32_e32 v32, 0xff, v0
	v_add_nc_u32_e32 v18, 0, v4
	v_and_b32_e32 v33, 0xff, v19
	v_fmamk_f16 v22, v29, 0xbaee, v21
	v_fmac_f16_e32 v21, 0x3aee, v29
	v_add_f16_e32 v44, v44, v46
	v_add_f16_e32 v71, v41, v43
	ds_store_b16 v23, v35 offset:3024
	ds_store_b16 v23, v22 offset:3026
	;; [unrolled: 1-line block ×3, first 2 shown]
	s_waitcnt lgkmcnt(0)
	s_barrier
	buffer_gl0_inv
	ds_load_u16 v51, v18 offset:2520
	ds_load_u16 v50, v18 offset:2646
	;; [unrolled: 1-line block ×9, first 2 shown]
	ds_load_u16 v41, v18
	ds_load_u16 v40, v18 offset:126
	ds_load_u16 v39, v18 offset:252
	;; [unrolled: 1-line block ×14, first 2 shown]
	v_mul_lo_u16 v13, 0xab, v32
	ds_load_u16 v63, v18 offset:3024
	ds_load_u16 v61, v18 offset:3150
	;; [unrolled: 1-line block ×3, first 2 shown]
	s_waitcnt lgkmcnt(0)
	s_barrier
	buffer_gl0_inv
	ds_store_b16 v23, v58
	ds_store_b16 v23, v62 offset:2
	ds_store_b16 v23, v8 offset:4
	;; [unrolled: 1-line block ×23, first 2 shown]
	v_mul_lo_u16 v1, 0xab, v33
	v_lshrrev_b16 v43, 9, v13
	v_add_nc_u32_e32 v17, 0xbd, v0
	v_add_nc_u32_e32 v20, 0xfc, v0
	ds_store_b16 v23, v25 offset:3024
	ds_store_b16 v23, v27 offset:3026
	;; [unrolled: 1-line block ×3, first 2 shown]
	v_lshrrev_b16 v45, 9, v1
	v_add_nc_u32_e32 v1, 0x7e, v0
	v_mul_lo_u16 v8, v43, 3
	v_add_nc_u32_e32 v21, 0x13b, v0
	v_and_b32_e32 v27, 0xff, v17
	v_and_b32_e32 v25, 0xffff, v20
	;; [unrolled: 1-line block ×3, first 2 shown]
	v_sub_nc_u16 v8, v0, v8
	v_and_b32_e32 v23, 0xffff, v21
	v_mul_lo_u16 v7, 0xab, v27
	v_mul_lo_u16 v9, v45, 3
	;; [unrolled: 1-line block ×3, first 2 shown]
	v_and_b32_e32 v44, 0xff, v8
	v_mul_u32_u24_e32 v8, 0xaaab, v25
	v_add_nc_u32_e32 v24, 0x17a, v0
	v_lshrrev_b16 v58, 9, v7
	v_lshrrev_b16 v62, 9, v6
	v_mul_u32_u24_e32 v6, 0xaaab, v23
	v_lshrrev_b32_e32 v57, 17, v8
	v_sub_nc_u16 v7, v19, v9
	v_and_b32_e32 v28, 0xffff, v24
	v_mul_lo_u16 v8, v62, 3
	v_lshrrev_b32_e32 v56, 17, v6
	v_mul_lo_u16 v6, v58, 3
	v_and_b32_e32 v71, 0xff, v7
	v_mul_u32_u24_e32 v29, 0xaaab, v28
	v_sub_nc_u16 v7, v1, v8
	v_add_nc_u32_e32 v22, 0x1b9, v0
	v_sub_nc_u16 v6, v17, v6
	v_mul_lo_u16 v9, v57, 3
	v_lshrrev_b32_e32 v66, 17, v29
	v_and_b32_e32 v68, 0xff, v7
	v_and_b32_e32 v29, 0xffff, v22
	v_lshlrev_b32_e32 v5, 3, v44
	v_mul_lo_u16 v8, v56, 3
	v_and_b32_e32 v64, 0xff, v6
	v_lshlrev_b32_e32 v6, 3, v71
	v_lshlrev_b32_e32 v7, 3, v68
	v_mul_lo_u16 v31, v66, 3
	v_mul_u32_u24_e32 v74, 0xaaab, v29
	v_sub_nc_u16 v9, v20, v9
	s_waitcnt lgkmcnt(0)
	s_barrier
	buffer_gl0_inv
	s_clause 0x2
	global_load_b64 v[15:16], v5, s[4:5]
	global_load_b64 v[13:14], v6, s[4:5]
	;; [unrolled: 1-line block ×3, first 2 shown]
	v_sub_nc_u16 v5, v21, v8
	v_add_nc_u32_e32 v30, 0x1f8, v0
	v_sub_nc_u16 v75, v24, v31
	v_lshrrev_b32_e32 v74, 17, v74
	v_and_b32_e32 v65, 0xffff, v9
	v_and_b32_e32 v67, 0xffff, v5
	;; [unrolled: 1-line block ×4, first 2 shown]
	v_mul_lo_u16 v75, v74, 3
	v_lshlrev_b32_e32 v5, 3, v64
	v_lshlrev_b32_e32 v6, 3, v65
	;; [unrolled: 1-line block ×3, first 2 shown]
	v_mul_u32_u24_e32 v77, 0xaaab, v31
	v_sub_nc_u16 v79, v22, v75
	s_clause 0x2
	global_load_b64 v[7:8], v5, s[4:5]
	global_load_b64 v[5:6], v6, s[4:5]
	;; [unrolled: 1-line block ×3, first 2 shown]
	v_lshlrev_b32_e32 v78, 3, v76
	v_and_b32_e32 v43, 0xffff, v43
	v_lshrrev_b32_e32 v75, 17, v77
	v_and_b32_e32 v77, 0xffff, v79
	v_and_b32_e32 v45, 0xffff, v45
	global_load_b64 v[80:81], v78, s[4:5]
	v_lshlrev_b32_e32 v44, 1, v44
	v_mul_u32_u24_e32 v43, 18, v43
	v_lshlrev_b32_e32 v79, 3, v77
	v_mul_u32_u24_e32 v45, 18, v45
	v_mul_u32_u24_e32 v57, 18, v57
	v_cmp_gt_u32_e64 s0, 18, v0
	v_add3_u32 v43, 0, v43, v44
	global_load_b64 v[82:83], v79, s[4:5]
	v_mul_lo_u16 v78, v75, 3
	v_and_b32_e32 v44, 0xffff, v62
	s_delay_alu instid0(VALU_DEP_2) | instskip(NEXT) | instid1(VALU_DEP_2)
	v_sub_nc_u16 v78, v30, v78
	v_mul_u32_u24_e32 v44, 18, v44
	s_delay_alu instid0(VALU_DEP_2) | instskip(NEXT) | instid1(VALU_DEP_1)
	v_and_b32_e32 v78, 0xffff, v78
	v_lshlrev_b32_e32 v79, 3, v78
	global_load_b64 v[84:85], v79, s[4:5]
	ds_load_u16 v86, v18 offset:1134
	ds_load_u16 v87, v18 offset:2268
	;; [unrolled: 1-line block ×16, first 2 shown]
	s_waitcnt vmcnt(8)
	v_lshrrev_b32_e32 v99, 16, v15
	v_lshrrev_b32_e32 v101, 16, v16
	s_waitcnt vmcnt(7)
	v_lshrrev_b32_e32 v105, 16, v13
	s_waitcnt vmcnt(6)
	v_lshrrev_b32_e32 v108, 16, v12
	v_lshrrev_b32_e32 v106, 16, v14
	s_waitcnt lgkmcnt(15)
	v_mul_f16_e32 v103, v86, v99
	s_waitcnt lgkmcnt(14)
	v_mul_f16_e32 v104, v87, v101
	v_mul_f16_e32 v99, v72, v99
	;; [unrolled: 1-line block ×3, first 2 shown]
	v_lshrrev_b32_e32 v107, 16, v11
	v_fmac_f16_e32 v103, v72, v15
	v_fmac_f16_e32 v104, v73, v16
	s_waitcnt lgkmcnt(8)
	v_mul_f16_e32 v72, v93, v105
	v_mul_f16_e32 v73, v70, v105
	;; [unrolled: 1-line block ×3, first 2 shown]
	s_waitcnt vmcnt(5)
	v_lshrrev_b32_e32 v109, 16, v7
	v_lshrrev_b32_e32 v110, 16, v8
	s_waitcnt vmcnt(4)
	v_lshrrev_b32_e32 v112, 16, v6
	v_fma_f16 v15, v86, v15, -v99
	v_fma_f16 v16, v87, v16, -v101
	v_mul_f16_e32 v86, v88, v106
	v_mul_f16_e32 v87, v69, v106
	;; [unrolled: 1-line block ×3, first 2 shown]
	v_fmac_f16_e32 v105, v51, v12
	ds_load_u16 v51, v18 offset:3024
	v_lshrrev_b32_e32 v111, 16, v5
	s_waitcnt lgkmcnt(8)
	v_mul_f16_e32 v99, v94, v107
	v_mul_f16_e32 v101, v55, v107
	s_waitcnt lgkmcnt(7)
	v_mul_f16_e32 v107, v95, v109
	v_mul_f16_e32 v108, v54, v109
	;; [unrolled: 1-line block ×3, first 2 shown]
	s_waitcnt vmcnt(3)
	v_lshrrev_b32_e32 v113, 16, v9
	v_lshrrev_b32_e32 v114, 16, v10
	v_fmac_f16_e32 v72, v70, v13
	v_mul_f16_e32 v70, v91, v112
	v_mul_f16_e32 v110, v50, v110
	s_waitcnt lgkmcnt(6)
	v_mul_f16_e32 v115, v96, v111
	v_fmac_f16_e32 v109, v50, v8
	ds_load_u16 v50, v18 offset:3150
	v_mul_f16_e32 v112, v49, v112
	v_fma_f16 v13, v93, v13, -v73
	s_waitcnt lgkmcnt(6)
	v_mul_f16_e32 v73, v97, v113
	v_fmac_f16_e32 v86, v69, v14
	v_mul_f16_e32 v69, v92, v114
	v_fmac_f16_e32 v70, v49, v6
	s_waitcnt vmcnt(2)
	v_lshrrev_b32_e32 v49, 16, v80
	v_mul_f16_e32 v111, v53, v111
	v_fmac_f16_e32 v115, v53, v5
	v_mul_f16_e32 v53, v46, v114
	v_mul_f16_e32 v93, v52, v113
	v_fmac_f16_e32 v73, v52, v9
	s_waitcnt lgkmcnt(5)
	v_mul_f16_e32 v52, v98, v49
	v_fmac_f16_e32 v69, v46, v10
	v_lshrrev_b32_e32 v46, 16, v81
	v_fma_f16 v10, v92, v10, -v53
	ds_load_u16 v53, v18 offset:3276
	v_fmac_f16_e32 v107, v54, v7
	v_mul_f16_e32 v49, v48, v49
	v_fmac_f16_e32 v52, v48, v80
	s_waitcnt vmcnt(1)
	v_lshrrev_b32_e32 v48, 16, v82
	s_waitcnt lgkmcnt(2)
	v_mul_f16_e32 v54, v51, v46
	v_mul_f16_e32 v46, v63, v46
	v_fmac_f16_e32 v99, v55, v11
	v_lshrrev_b32_e32 v55, 16, v83
	v_fma_f16 v49, v98, v80, -v49
	v_mul_f16_e32 v80, v100, v48
	v_fmac_f16_e32 v54, v63, v81
	v_fma_f16 v46, v51, v81, -v46
	ds_load_u16 v81, v18
	s_waitcnt lgkmcnt(2)
	v_mul_f16_e32 v51, v50, v55
	v_mul_f16_e32 v48, v47, v48
	v_fmac_f16_e32 v80, v47, v82
	v_mul_f16_e32 v47, v61, v55
	s_waitcnt vmcnt(0)
	v_lshrrev_b32_e32 v55, 16, v84
	v_fmac_f16_e32 v51, v61, v83
	v_lshrrev_b32_e32 v61, 16, v85
	v_fma_f16 v14, v88, v14, -v87
	v_fma_f16 v47, v50, v83, -v47
	v_mul_f16_e32 v50, v102, v55
	v_mul_f16_e32 v55, v59, v55
	s_waitcnt lgkmcnt(1)
	v_mul_f16_e32 v63, v53, v61
	v_mul_f16_e32 v61, v60, v61
	v_fma_f16 v12, v89, v12, -v106
	v_fmac_f16_e32 v50, v59, v84
	v_add_f16_e32 v59, v103, v104
	v_fma_f16 v48, v100, v82, -v48
	v_fma_f16 v55, v102, v84, -v55
	v_fmac_f16_e32 v63, v60, v85
	v_fma_f16 v53, v53, v85, -v61
	ds_load_u16 v82, v18 offset:126
	ds_load_u16 v83, v18 offset:252
	;; [unrolled: 1-line block ×7, first 2 shown]
	v_add_f16_e32 v60, v41, v103
	v_fmac_f16_e32 v41, -0.5, v59
	v_add_f16_e32 v59, v15, v16
	v_sub_f16_e32 v61, v15, v16
	s_waitcnt lgkmcnt(7)
	v_add_f16_e32 v15, v81, v15
	v_fma_f16 v8, v90, v8, -v110
	v_fma_f16 v6, v91, v6, -v112
	v_fmac_f16_e32 v81, -0.5, v59
	v_add_f16_e32 v59, v60, v104
	v_sub_f16_e32 v60, v103, v104
	v_fmamk_f16 v90, v61, 0xbaee, v41
	v_fmac_f16_e32 v41, 0x3aee, v61
	v_add_f16_e32 v61, v15, v16
	v_add_f16_e32 v15, v72, v86
	v_fmamk_f16 v91, v60, 0x3aee, v81
	v_fmac_f16_e32 v81, 0xbaee, v60
	v_add_f16_e32 v16, v13, v14
	v_add_f16_e32 v60, v40, v72
	v_fmac_f16_e32 v40, -0.5, v15
	v_sub_f16_e32 v15, v13, v14
	s_waitcnt lgkmcnt(6)
	v_add_f16_e32 v13, v82, v13
	v_fma_f16 v11, v94, v11, -v101
	v_fmac_f16_e32 v82, -0.5, v16
	v_add_f16_e32 v16, v60, v86
	v_sub_f16_e32 v60, v72, v86
	v_add_f16_e32 v13, v13, v14
	v_add_f16_e32 v14, v99, v105
	v_fmamk_f16 v72, v15, 0xbaee, v40
	v_fmac_f16_e32 v40, 0x3aee, v15
	v_fmamk_f16 v86, v60, 0x3aee, v82
	v_fmac_f16_e32 v82, 0xbaee, v60
	v_add_f16_e32 v15, v11, v12
	v_add_f16_e32 v60, v39, v99
	v_fmac_f16_e32 v39, -0.5, v14
	v_sub_f16_e32 v14, v11, v12
	s_waitcnt lgkmcnt(5)
	v_add_f16_e32 v11, v83, v11
	v_fma_f16 v7, v95, v7, -v108
	v_fmac_f16_e32 v83, -0.5, v15
	v_add_f16_e32 v15, v60, v105
	v_sub_f16_e32 v60, v99, v105
	v_add_f16_e32 v11, v11, v12
	v_add_f16_e32 v12, v107, v109
	v_fma_f16 v9, v97, v9, -v93
	v_fmamk_f16 v92, v14, 0xbaee, v39
	v_fmac_f16_e32 v39, 0x3aee, v14
	v_fmamk_f16 v14, v60, 0x3aee, v83
	v_fmac_f16_e32 v83, 0xbaee, v60
	v_add_f16_e32 v60, v7, v8
	v_add_f16_e32 v93, v38, v107
	v_fmac_f16_e32 v38, -0.5, v12
	v_sub_f16_e32 v12, v7, v8
	s_waitcnt lgkmcnt(4)
	v_add_f16_e32 v7, v84, v7
	v_fma_f16 v5, v96, v5, -v111
	v_fmac_f16_e32 v84, -0.5, v60
	v_add_f16_e32 v60, v93, v109
	v_sub_f16_e32 v93, v107, v109
	v_add_f16_e32 v7, v7, v8
	v_add_f16_e32 v8, v115, v70
	v_fmamk_f16 v94, v12, 0xbaee, v38
	v_fmac_f16_e32 v38, 0x3aee, v12
	v_fmamk_f16 v12, v93, 0x3aee, v84
	v_fmac_f16_e32 v84, 0xbaee, v93
	v_add_f16_e32 v93, v5, v6
	v_add_f16_e32 v95, v37, v115
	v_fmac_f16_e32 v37, -0.5, v8
	v_sub_f16_e32 v8, v5, v6
	s_waitcnt lgkmcnt(3)
	v_add_f16_e32 v5, v85, v5
	v_fmac_f16_e32 v85, -0.5, v93
	v_add_f16_e32 v93, v95, v70
	v_sub_f16_e32 v70, v115, v70
	v_fmamk_f16 v95, v8, 0xbaee, v37
	v_add_f16_e32 v5, v5, v6
	v_add_f16_e32 v6, v73, v69
	v_fmac_f16_e32 v37, 0x3aee, v8
	v_fmamk_f16 v8, v70, 0x3aee, v85
	v_fmac_f16_e32 v85, 0xbaee, v70
	v_add_f16_e32 v70, v9, v10
	v_add_f16_e32 v96, v36, v73
	v_fmac_f16_e32 v36, -0.5, v6
	v_sub_f16_e32 v6, v9, v10
	s_waitcnt lgkmcnt(2)
	v_add_f16_e32 v9, v87, v9
	v_fmac_f16_e32 v87, -0.5, v70
	v_add_f16_e32 v70, v96, v69
	v_sub_f16_e32 v69, v73, v69
	v_fmamk_f16 v73, v6, 0xbaee, v36
	v_fmac_f16_e32 v36, 0x3aee, v6
	v_add_f16_e32 v6, v9, v10
	v_add_f16_e32 v9, v52, v54
	v_fmamk_f16 v10, v69, 0x3aee, v87
	v_fmac_f16_e32 v87, 0xbaee, v69
	v_add_f16_e32 v69, v49, v46
	v_add_f16_e32 v96, v35, v52
	v_fmac_f16_e32 v35, -0.5, v9
	v_sub_f16_e32 v9, v49, v46
	s_waitcnt lgkmcnt(1)
	v_add_f16_e32 v49, v88, v49
	v_fmac_f16_e32 v88, -0.5, v69
	v_add_f16_e32 v69, v96, v54
	v_sub_f16_e32 v52, v52, v54
	v_fmamk_f16 v54, v9, 0xbaee, v35
	v_fmac_f16_e32 v35, 0x3aee, v9
	v_add_f16_e32 v9, v49, v46
	v_add_f16_e32 v46, v80, v51
	;; [unrolled: 15-line block ×3, first 2 shown]
	v_fmamk_f16 v80, v51, 0x3aee, v89
	v_fmac_f16_e32 v89, 0xbaee, v51
	v_add_f16_e32 v48, v55, v53
	v_add_f16_e32 v51, v42, v50
	v_fmac_f16_e32 v42, -0.5, v47
	v_sub_f16_e32 v47, v55, v53
	v_add_f16_e32 v55, v79, v55
	v_fmac_f16_e32 v79, -0.5, v48
	v_add_f16_e32 v48, v51, v63
	v_sub_f16_e32 v50, v50, v63
	v_fmamk_f16 v51, v47, 0xbaee, v42
	v_fmac_f16_e32 v42, 0x3aee, v47
	v_lshlrev_b32_e32 v47, 1, v71
	s_delay_alu instid0(VALU_DEP_4) | instskip(SKIP_2) | instid1(VALU_DEP_3)
	v_fmamk_f16 v71, v50, 0x3aee, v79
	v_fmac_f16_e32 v79, 0xbaee, v50
	s_barrier
	v_add3_u32 v50, 0, v45, v47
	v_lshlrev_b32_e32 v45, 1, v68
	buffer_gl0_inv
	ds_store_b16 v43, v59
	ds_store_b16 v43, v90 offset:6
	ds_store_b16 v43, v41 offset:12
	v_and_b32_e32 v41, 0xffff, v58
	ds_store_b16 v50, v16
	ds_store_b16 v50, v72 offset:6
	ds_store_b16 v50, v40 offset:12
	v_add3_u32 v44, 0, v44, v45
	v_lshlrev_b32_e32 v16, 1, v64
	v_lshlrev_b32_e32 v45, 1, v67
	v_mul_u32_u24_e32 v41, 18, v41
	ds_store_b16 v44, v15
	ds_store_b16 v44, v92 offset:6
	ds_store_b16 v44, v39 offset:12
	v_mul_u32_u24_e32 v15, 18, v56
	v_lshlrev_b32_e32 v40, 1, v65
	v_add3_u32 v59, 0, v41, v16
	v_lshlrev_b32_e32 v47, 1, v76
	v_mul_u32_u24_e32 v16, 18, v66
	v_mul_lo_u16 v41, v32, 57
	v_add_f16_e32 v55, v55, v53
	v_lshlrev_b32_e32 v53, 1, v77
	ds_store_b16 v59, v60
	ds_store_b16 v59, v94 offset:6
	ds_store_b16 v59, v38 offset:12
	v_add3_u32 v60, 0, v15, v45
	v_mul_u32_u24_e32 v15, 18, v74
	v_lshlrev_b32_e32 v58, 1, v78
	v_add3_u32 v65, 0, v57, v40
	v_add3_u32 v66, 0, v16, v47
	v_mul_u32_u24_e32 v16, 18, v75
	v_lshrrev_b16 v41, 9, v41
	v_add3_u32 v72, 0, v15, v53
	ds_store_b16 v65, v93
	ds_store_b16 v65, v95 offset:6
	ds_store_b16 v65, v37 offset:12
	ds_store_b16 v60, v70
	ds_store_b16 v60, v73 offset:6
	ds_store_b16 v60, v36 offset:12
	v_add3_u32 v73, 0, v16, v58
	ds_store_b16 v66, v69
	ds_store_b16 v66, v54 offset:6
	ds_store_b16 v66, v35 offset:12
	ds_store_b16 v72, v49
	ds_store_b16 v72, v52 offset:6
	ds_store_b16 v72, v34 offset:12
	;; [unrolled: 3-line block ×3, first 2 shown]
	s_waitcnt lgkmcnt(0)
	s_barrier
	buffer_gl0_inv
	ds_load_u16 v56, v18 offset:2520
	ds_load_u16 v53, v18 offset:2646
	;; [unrolled: 1-line block ×9, first 2 shown]
	ds_load_u16 v40, v18
	ds_load_u16 v39, v18 offset:126
	ds_load_u16 v38, v18 offset:252
	;; [unrolled: 1-line block ×17, first 2 shown]
	s_waitcnt lgkmcnt(0)
	s_barrier
	buffer_gl0_inv
	ds_store_b16 v43, v61
	ds_store_b16 v43, v91 offset:6
	ds_store_b16 v43, v81 offset:12
	ds_store_b16 v50, v13
	ds_store_b16 v50, v86 offset:6
	ds_store_b16 v50, v82 offset:12
	v_mul_lo_u16 v13, v41, 9
	ds_store_b16 v44, v11
	ds_store_b16 v44, v14 offset:6
	ds_store_b16 v44, v83 offset:12
	ds_store_b16 v59, v7
	ds_store_b16 v59, v12 offset:6
	ds_store_b16 v59, v84 offset:12
	ds_store_b16 v65, v5
	ds_store_b16 v65, v8 offset:6
	ds_store_b16 v65, v85 offset:12
	ds_store_b16 v60, v6
	ds_store_b16 v60, v10 offset:6
	ds_store_b16 v60, v87 offset:12
	v_mul_lo_u16 v8, v26, 57
	v_mul_lo_u16 v5, v33, 57
	v_sub_nc_u16 v7, v0, v13
	ds_store_b16 v66, v9
	ds_store_b16 v66, v96 offset:6
	ds_store_b16 v66, v88 offset:12
	v_mul_lo_u16 v9, v27, 57
	v_lshrrev_b16 v44, 9, v8
	v_lshrrev_b16 v43, 9, v5
	v_and_b32_e32 v42, 0xff, v7
	v_mul_u32_u24_e32 v12, 0xe38f, v23
	v_lshrrev_b16 v50, 9, v9
	v_mul_lo_u16 v10, v44, 9
	v_mul_lo_u16 v6, v43, 9
	v_lshlrev_b32_e32 v5, 3, v42
	ds_store_b16 v72, v46
	ds_store_b16 v72, v80 offset:6
	ds_store_b16 v72, v89 offset:12
	v_mul_lo_u16 v11, v50, 9
	v_sub_nc_u16 v9, v1, v10
	v_mul_u32_u24_e32 v10, 0xe38f, v25
	ds_store_b16 v73, v55
	ds_store_b16 v73, v71 offset:6
	ds_store_b16 v73, v79 offset:12
	s_waitcnt lgkmcnt(0)
	s_barrier
	buffer_gl0_inv
	v_sub_nc_u16 v7, v19, v6
	global_load_b64 v[5:6], v5, s[4:5] offset:24
	v_and_b32_e32 v60, 0xff, v9
	v_lshrrev_b32_e32 v55, 19, v10
	v_sub_nc_u16 v9, v17, v11
	v_lshrrev_b32_e32 v61, 19, v12
	v_and_b32_e32 v46, 0xff, v7
	v_lshlrev_b32_e32 v10, 3, v60
	v_mul_lo_u16 v11, v55, 9
	v_and_b32_e32 v59, 0xff, v9
	v_mul_lo_u16 v14, v61, 9
	v_lshlrev_b32_e32 v7, 3, v46
	global_load_b64 v[9:10], v10, s[4:5] offset:24
	v_sub_nc_u16 v11, v20, v11
	v_lshlrev_b32_e32 v13, 3, v59
	v_sub_nc_u16 v72, v21, v14
	global_load_b64 v[7:8], v7, s[4:5] offset:24
	v_mul_u32_u24_e32 v73, 0xe38f, v29
	v_and_b32_e32 v66, 0xffff, v11
	global_load_b64 v[11:12], v13, s[4:5] offset:24
	v_mul_u32_u24_e32 v13, 0xe38f, v28
	v_and_b32_e32 v72, 0xffff, v72
	v_and_b32_e32 v41, 0xffff, v41
	v_lshlrev_b32_e32 v71, 3, v66
	v_lshlrev_b32_e32 v42, 1, v42
	v_lshrrev_b32_e32 v65, 19, v13
	v_lshlrev_b32_e32 v75, 3, v72
	v_mul_u32_u24_e32 v41, 54, v41
	s_clause 0x1
	global_load_b64 v[13:14], v71, s[4:5] offset:24
	global_load_b64 v[78:79], v75, s[4:5] offset:24
	v_mul_lo_u16 v71, v65, 9
	v_mul_u32_u24_e32 v75, 0xe38f, v31
	s_delay_alu instid0(VALU_DEP_2) | instskip(SKIP_1) | instid1(VALU_DEP_2)
	v_sub_nc_u16 v74, v24, v71
	v_lshrrev_b32_e32 v71, 19, v73
	v_and_b32_e32 v73, 0xffff, v74
	s_delay_alu instid0(VALU_DEP_2) | instskip(NEXT) | instid1(VALU_DEP_2)
	v_mul_lo_u16 v74, v71, 9
	v_lshlrev_b32_e32 v76, 3, v73
	s_delay_alu instid0(VALU_DEP_2) | instskip(SKIP_3) | instid1(VALU_DEP_1)
	v_sub_nc_u16 v77, v22, v74
	v_lshrrev_b32_e32 v74, 19, v75
	global_load_b64 v[80:81], v76, s[4:5] offset:24
	v_and_b32_e32 v75, 0xffff, v77
	v_lshlrev_b32_e32 v77, 3, v75
	global_load_b64 v[82:83], v77, s[4:5] offset:24
	v_mul_lo_u16 v76, v74, 9
	s_delay_alu instid0(VALU_DEP_1) | instskip(NEXT) | instid1(VALU_DEP_1)
	v_sub_nc_u16 v76, v30, v76
	v_and_b32_e32 v76, 0xffff, v76
	s_delay_alu instid0(VALU_DEP_1)
	v_lshlrev_b32_e32 v77, 3, v76
	global_load_b64 v[84:85], v77, s[4:5] offset:24
	ds_load_u16 v86, v18 offset:1134
	ds_load_u16 v87, v18 offset:2268
	;; [unrolled: 1-line block ×16, first 2 shown]
	s_waitcnt vmcnt(8)
	v_lshrrev_b32_e32 v88, 16, v5
	s_waitcnt lgkmcnt(15)
	s_delay_alu instid0(VALU_DEP_1) | instskip(SKIP_1) | instid1(VALU_DEP_2)
	v_mul_f16_e32 v95, v86, v88
	v_mul_f16_e32 v88, v69, v88
	v_fmac_f16_e32 v95, v69, v5
	v_lshrrev_b32_e32 v69, 16, v6
	s_delay_alu instid0(VALU_DEP_3)
	v_fma_f16 v5, v86, v5, -v88
	s_waitcnt vmcnt(6)
	v_lshrrev_b32_e32 v97, 16, v7
	s_waitcnt lgkmcnt(14)
	v_mul_f16_e32 v104, v87, v69
	v_mul_f16_e32 v69, v67, v69
	v_lshrrev_b32_e32 v88, 16, v8
	s_waitcnt lgkmcnt(13)
	v_mul_f16_e32 v86, v89, v97
	v_fmac_f16_e32 v104, v67, v6
	v_mul_f16_e32 v67, v63, v97
	v_fma_f16 v6, v87, v6, -v69
	v_lshrrev_b32_e32 v69, 16, v9
	v_fmac_f16_e32 v86, v63, v7
	s_waitcnt lgkmcnt(6)
	v_mul_f16_e32 v63, v96, v88
	v_fma_f16 v7, v89, v7, -v67
	v_mul_f16_e32 v67, v62, v88
	v_lshrrev_b32_e32 v87, 16, v10
	s_waitcnt vmcnt(5)
	v_lshrrev_b32_e32 v88, 16, v11
	v_fmac_f16_e32 v63, v62, v8
	v_mul_f16_e32 v62, v90, v69
	v_mul_f16_e32 v69, v58, v69
	v_fma_f16 v8, v96, v8, -v67
	s_waitcnt lgkmcnt(5)
	v_mul_f16_e32 v67, v98, v87
	v_add_f16_e32 v96, v39, v86
	v_fmac_f16_e32 v62, v58, v9
	v_fma_f16 v9, v90, v9, -v69
	v_mul_f16_e32 v58, v56, v87
	v_fmac_f16_e32 v67, v56, v10
	v_mul_f16_e32 v56, v91, v88
	v_mul_f16_e32 v69, v57, v88
	v_lshrrev_b32_e32 v87, 16, v12
	v_fma_f16 v10, v98, v10, -v58
	s_waitcnt vmcnt(4)
	v_lshrrev_b32_e32 v58, 16, v13
	v_fmac_f16_e32 v56, v57, v11
	v_fma_f16 v11, v91, v11, -v69
	s_waitcnt lgkmcnt(4)
	v_mul_f16_e32 v57, v99, v87
	v_mul_f16_e32 v69, v53, v87
	;; [unrolled: 1-line block ×4, first 2 shown]
	v_lshrrev_b32_e32 v88, 16, v14
	v_fmac_f16_e32 v57, v53, v12
	v_fma_f16 v12, v99, v12, -v69
	ds_load_u16 v69, v18 offset:3024
	v_fmac_f16_e32 v87, v54, v13
	v_fma_f16 v13, v92, v13, -v58
	s_waitcnt lgkmcnt(4)
	v_mul_f16_e32 v53, v100, v88
	v_mul_f16_e32 v54, v51, v88
	s_waitcnt vmcnt(3)
	v_lshrrev_b32_e32 v58, 16, v78
	v_lshrrev_b32_e32 v88, 16, v79
	ds_load_u16 v90, v18 offset:3150
	v_fmac_f16_e32 v53, v51, v14
	v_fma_f16 v14, v100, v14, -v54
	v_mul_f16_e32 v51, v93, v58
	v_mul_f16_e32 v54, v52, v58
	s_waitcnt lgkmcnt(4)
	v_mul_f16_e32 v58, v101, v88
	s_waitcnt vmcnt(2)
	v_lshrrev_b32_e32 v89, 16, v80
	v_mul_f16_e32 v88, v47, v88
	v_fmac_f16_e32 v51, v52, v78
	v_fma_f16 v52, v93, v78, -v54
	v_lshrrev_b32_e32 v78, 16, v81
	v_mul_f16_e32 v54, v94, v89
	v_fmac_f16_e32 v58, v47, v79
	v_fma_f16 v47, v101, v79, -v88
	v_mul_f16_e32 v79, v49, v89
	ds_load_u16 v88, v18 offset:3276
	s_waitcnt lgkmcnt(2)
	v_mul_f16_e32 v89, v69, v78
	v_mul_f16_e32 v78, v70, v78
	v_fmac_f16_e32 v54, v49, v80
	s_waitcnt vmcnt(1)
	v_lshrrev_b32_e32 v49, 16, v82
	v_fma_f16 v79, v94, v80, -v79
	v_lshrrev_b32_e32 v80, 16, v83
	v_fmac_f16_e32 v89, v70, v81
	v_fma_f16 v69, v69, v81, -v78
	ds_load_u16 v81, v18
	v_mul_f16_e32 v91, v102, v49
	s_waitcnt lgkmcnt(2)
	v_mul_f16_e32 v70, v90, v80
	s_waitcnt vmcnt(0)
	v_lshrrev_b32_e32 v78, 16, v84
	v_mul_f16_e32 v49, v48, v49
	v_fmac_f16_e32 v91, v48, v82
	v_mul_f16_e32 v48, v68, v80
	v_fmac_f16_e32 v70, v68, v83
	v_lshrrev_b32_e32 v68, 16, v85
	v_mul_f16_e32 v80, v103, v78
	v_fma_f16 v49, v102, v82, -v49
	v_mul_f16_e32 v78, v45, v78
	v_fma_f16 v48, v90, v83, -v48
	s_waitcnt lgkmcnt(1)
	v_mul_f16_e32 v82, v88, v68
	v_mul_f16_e32 v68, v64, v68
	v_fmac_f16_e32 v80, v45, v84
	v_add_f16_e32 v45, v95, v104
	v_fma_f16 v78, v103, v84, -v78
	v_fmac_f16_e32 v82, v64, v85
	v_fma_f16 v64, v88, v85, -v68
	ds_load_u16 v84, v18 offset:126
	ds_load_u16 v85, v18 offset:252
	;; [unrolled: 1-line block ×7, first 2 shown]
	v_add_f16_e32 v68, v40, v95
	v_fmac_f16_e32 v40, -0.5, v45
	v_add_f16_e32 v45, v5, v6
	v_sub_f16_e32 v83, v5, v6
	s_waitcnt lgkmcnt(7)
	v_add_f16_e32 v5, v81, v5
	s_waitcnt lgkmcnt(0)
	s_barrier
	v_fmac_f16_e32 v81, -0.5, v45
	v_add_f16_e32 v45, v68, v104
	v_sub_f16_e32 v68, v95, v104
	v_add_f16_e32 v5, v5, v6
	v_add_f16_e32 v6, v86, v63
	v_fmamk_f16 v95, v83, 0xbaee, v40
	v_fmac_f16_e32 v40, 0x3aee, v83
	v_fmamk_f16 v83, v68, 0x3aee, v81
	v_fmac_f16_e32 v81, 0xbaee, v68
	v_add_f16_e32 v68, v7, v8
	v_fmac_f16_e32 v39, -0.5, v6
	v_sub_f16_e32 v6, v7, v8
	v_add_f16_e32 v7, v84, v7
	buffer_gl0_inv
	v_fmac_f16_e32 v84, -0.5, v68
	v_add_f16_e32 v68, v96, v63
	v_sub_f16_e32 v63, v86, v63
	v_fmamk_f16 v86, v6, 0xbaee, v39
	v_fmac_f16_e32 v39, 0x3aee, v6
	v_add_f16_e32 v6, v7, v8
	v_add_f16_e32 v7, v62, v67
	v_fmamk_f16 v8, v63, 0x3aee, v84
	v_fmac_f16_e32 v84, 0xbaee, v63
	v_add_f16_e32 v63, v9, v10
	v_add_f16_e32 v96, v38, v62
	v_fmac_f16_e32 v38, -0.5, v7
	v_sub_f16_e32 v7, v9, v10
	v_add_f16_e32 v9, v85, v9
	v_fmac_f16_e32 v85, -0.5, v63
	v_add_f16_e32 v63, v96, v67
	v_sub_f16_e32 v62, v62, v67
	v_fmamk_f16 v67, v7, 0xbaee, v38
	v_fmac_f16_e32 v38, 0x3aee, v7
	v_add_f16_e32 v7, v9, v10
	v_add_f16_e32 v9, v56, v57
	v_fmamk_f16 v10, v62, 0x3aee, v85
	v_fmac_f16_e32 v85, 0xbaee, v62
	v_add_f16_e32 v62, v11, v12
	v_add_f16_e32 v96, v37, v56
	v_fmac_f16_e32 v37, -0.5, v9
	v_sub_f16_e32 v9, v11, v12
	v_add_f16_e32 v11, v88, v11
	;; [unrolled: 14-line block ×3, first 2 shown]
	v_fmac_f16_e32 v90, -0.5, v12
	v_add_f16_e32 v12, v56, v53
	v_sub_f16_e32 v53, v87, v53
	v_fmamk_f16 v56, v11, 0xbaee, v36
	v_fmac_f16_e32 v36, 0x3aee, v11
	v_add_f16_e32 v11, v51, v58
	v_add_f16_e32 v87, v13, v14
	;; [unrolled: 1-line block ×4, first 2 shown]
	v_fmamk_f16 v97, v53, 0x3aee, v90
	v_fmac_f16_e32 v35, -0.5, v11
	v_sub_f16_e32 v11, v52, v47
	v_add_f16_e32 v52, v92, v52
	v_fmac_f16_e32 v92, -0.5, v13
	v_add_f16_e32 v13, v14, v58
	v_sub_f16_e32 v14, v51, v58
	v_fmamk_f16 v51, v11, 0xbaee, v35
	v_fmac_f16_e32 v35, 0x3aee, v11
	v_add_f16_e32 v11, v54, v89
	v_add_f16_e32 v98, v52, v47
	v_fmamk_f16 v99, v14, 0x3aee, v92
	v_fmac_f16_e32 v92, 0xbaee, v14
	v_add_f16_e32 v14, v79, v69
	v_add_f16_e32 v47, v16, v54
	v_fmac_f16_e32 v16, -0.5, v11
	v_sub_f16_e32 v11, v79, v69
	v_fmac_f16_e32 v90, 0xbaee, v53
	v_add_f16_e32 v52, v93, v79
	v_fmac_f16_e32 v93, -0.5, v14
	v_add_f16_e32 v14, v47, v89
	v_sub_f16_e32 v47, v54, v89
	v_fmamk_f16 v53, v11, 0xbaee, v16
	v_fmac_f16_e32 v16, 0x3aee, v11
	v_add_f16_e32 v11, v91, v70
	v_add_f16_e32 v69, v52, v69
	v_fmamk_f16 v79, v47, 0x3aee, v93
	v_fmac_f16_e32 v93, 0xbaee, v47
	v_add_f16_e32 v47, v49, v48
	v_add_f16_e32 v52, v15, v91
	v_fmac_f16_e32 v15, -0.5, v11
	v_sub_f16_e32 v11, v49, v48
	v_add_f16_e32 v49, v94, v49
	v_fmac_f16_e32 v94, -0.5, v47
	v_add_f16_e32 v47, v52, v70
	v_sub_f16_e32 v52, v91, v70
	v_fmamk_f16 v54, v11, 0xbaee, v15
	v_fmac_f16_e32 v15, 0x3aee, v11
	v_add_f16_e32 v11, v80, v82
	v_add_f16_e32 v48, v49, v48
	v_fmamk_f16 v70, v52, 0x3aee, v94
	v_fmac_f16_e32 v94, 0xbaee, v52
	v_add_f16_e32 v52, v34, v80
	v_fmac_f16_e32 v34, -0.5, v11
	v_sub_f16_e32 v11, v78, v64
	v_add_f16_e32 v49, v78, v64
	v_add_f16_e32 v58, v77, v78
	s_delay_alu instid0(VALU_DEP_3)
	v_fmamk_f16 v78, v11, 0xbaee, v34
	v_fmac_f16_e32 v34, 0x3aee, v11
	v_and_b32_e32 v11, 0xffff, v43
	v_fmac_f16_e32 v77, -0.5, v49
	v_add_f16_e32 v49, v52, v82
	v_sub_f16_e32 v52, v80, v82
	v_lshlrev_b32_e32 v43, 1, v46
	v_mul_u32_u24_e32 v11, 54, v11
	v_add3_u32 v82, 0, v41, v42
	v_and_b32_e32 v41, 0xffff, v44
	ds_store_b16 v82, v45
	ds_store_b16 v82, v95 offset:18
	ds_store_b16 v82, v40 offset:36
	v_add3_u32 v89, 0, v11, v43
	v_lshlrev_b32_e32 v11, 1, v60
	v_mul_u32_u24_e32 v41, 54, v41
	ds_store_b16 v89, v68
	ds_store_b16 v89, v86 offset:18
	ds_store_b16 v89, v39 offset:36
	v_lshlrev_b32_e32 v39, 1, v59
	v_add3_u32 v60, 0, v41, v11
	v_and_b32_e32 v11, 0xffff, v50
	v_lshlrev_b32_e32 v40, 1, v66
	v_mul_u32_u24_e32 v45, 54, v55
	v_lshlrev_b32_e32 v41, 1, v72
	v_lshlrev_b32_e32 v42, 1, v73
	v_mul_u32_u24_e32 v11, 54, v11
	ds_store_b16 v60, v63
	ds_store_b16 v60, v67 offset:18
	ds_store_b16 v60, v38 offset:36
	v_add3_u32 v38, 0, v45, v40
	v_lshlrev_b32_e32 v43, 1, v75
	v_lshlrev_b32_e32 v44, 1, v76
	v_add3_u32 v39, 0, v11, v39
	v_mul_u32_u24_e32 v11, 54, v61
	ds_store_b16 v39, v62
	ds_store_b16 v39, v57 offset:18
	ds_store_b16 v39, v37 offset:36
	v_mul_u32_u24_e32 v37, 54, v65
	v_add3_u32 v57, 0, v11, v41
	v_mul_u32_u24_e32 v11, 54, v71
	ds_store_b16 v38, v12
	ds_store_b16 v38, v56 offset:18
	ds_store_b16 v38, v36 offset:36
	v_mul_u32_u24_e32 v12, 54, v74
	v_add3_u32 v37, 0, v37, v42
	v_add_f16_e32 v64, v58, v64
	v_add3_u32 v61, 0, v11, v43
	v_fmamk_f16 v80, v52, 0x3aee, v77
	v_fmac_f16_e32 v77, 0xbaee, v52
	ds_store_b16 v57, v13
	ds_store_b16 v57, v51 offset:18
	ds_store_b16 v57, v35 offset:36
	v_add3_u32 v62, 0, v12, v44
	ds_store_b16 v37, v14
	ds_store_b16 v37, v53 offset:18
	ds_store_b16 v37, v16 offset:36
	ds_store_b16 v61, v47
	ds_store_b16 v61, v54 offset:18
	ds_store_b16 v61, v15 offset:36
	;; [unrolled: 3-line block ×3, first 2 shown]
	s_waitcnt lgkmcnt(0)
	s_barrier
	buffer_gl0_inv
	ds_load_u16 v52, v18 offset:2520
	ds_load_u16 v50, v18 offset:2646
	;; [unrolled: 1-line block ×9, first 2 shown]
	ds_load_u16 v36, v18
	ds_load_u16 v35, v18 offset:126
	ds_load_u16 v34, v18 offset:252
	;; [unrolled: 1-line block ×17, first 2 shown]
	s_waitcnt lgkmcnt(0)
	s_barrier
	buffer_gl0_inv
	ds_store_b16 v82, v5
	ds_store_b16 v82, v83 offset:18
	ds_store_b16 v82, v81 offset:36
	v_mul_lo_u16 v5, v32, 19
	ds_store_b16 v89, v6
	ds_store_b16 v89, v8 offset:18
	ds_store_b16 v89, v84 offset:36
	ds_store_b16 v60, v7
	ds_store_b16 v60, v10 offset:18
	ds_store_b16 v60, v85 offset:36
	v_mul_lo_u16 v6, v33, 19
	ds_store_b16 v39, v9
	ds_store_b16 v39, v96 offset:18
	ds_store_b16 v39, v88 offset:36
	ds_store_b16 v38, v87
	ds_store_b16 v38, v97 offset:18
	ds_store_b16 v38, v90 offset:36
	;; [unrolled: 3-line block ×4, first 2 shown]
	v_lshrrev_b16 v32, 9, v5
	v_mul_u32_u24_e32 v7, 0x2f69, v25
	v_lshrrev_b16 v37, 9, v6
	v_mul_lo_u16 v9, v26, 19
	ds_store_b16 v61, v48
	ds_store_b16 v61, v70 offset:18
	ds_store_b16 v61, v94 offset:36
	v_mul_lo_u16 v5, v32, 27
	v_lshrrev_b32_e32 v10, 16, v7
	v_mul_lo_u16 v6, v37, 27
	v_lshrrev_b16 v39, 9, v9
	v_mul_lo_u16 v7, v27, 19
	v_sub_nc_u16 v5, v0, v5
	v_mul_u32_u24_e32 v61, 0x2f69, v23
	v_sub_nc_u16 v8, v19, v6
	v_mul_lo_u16 v57, v39, 27
	v_lshrrev_b16 v38, 9, v7
	v_and_b32_e32 v33, 0xff, v5
	ds_store_b16 v62, v64
	ds_store_b16 v62, v80 offset:18
	ds_store_b16 v62, v77 offset:36
	v_and_b32_e32 v48, 0xff, v8
	v_sub_nc_u16 v8, v20, v10
	s_waitcnt lgkmcnt(0)
	v_lshlrev_b32_e32 v5, 3, v33
	s_barrier
	v_lshlrev_b32_e32 v9, 3, v48
	v_lshrrev_b16 v60, 1, v8
	buffer_gl0_inv
	global_load_b64 v[5:6], v5, s[4:5] offset:96
	v_lshrrev_b32_e32 v62, 16, v61
	global_load_b64 v[7:8], v9, s[4:5] offset:96
	v_sub_nc_u16 v9, v1, v57
	v_mul_lo_u16 v57, v38, 27
	v_add_nc_u16 v10, v60, v10
	v_mul_u32_u24_e32 v61, 0x2f69, v28
	v_sub_nc_u16 v63, v21, v62
	v_and_b32_e32 v60, 0xff, v9
	v_sub_nc_u16 v9, v17, v57
	v_lshrrev_b16 v57, 4, v10
	v_lshrrev_b32_e32 v64, 16, v61
	v_lshrrev_b16 v63, 1, v63
	v_lshlrev_b32_e32 v10, 3, v60
	v_and_b32_e32 v61, 0xff, v9
	v_mul_lo_u16 v65, v57, 27
	v_sub_nc_u16 v66, v24, v64
	v_add_nc_u16 v62, v63, v62
	v_mul_u32_u24_e32 v67, 0x2f69, v29
	global_load_b64 v[9:10], v10, s[4:5] offset:96
	v_sub_nc_u16 v63, v20, v65
	v_lshrrev_b16 v66, 1, v66
	v_lshlrev_b32_e32 v65, 3, v61
	v_lshrrev_b32_e32 v67, 16, v67
	v_lshrrev_b16 v62, 4, v62
	v_and_b32_e32 v63, 0xffff, v63
	v_add_nc_u16 v64, v66, v64
	global_load_b64 v[72:73], v65, s[4:5] offset:96
	v_mul_u32_u24_e32 v69, 0x2f69, v31
	v_mul_lo_u16 v66, v62, 27
	v_lshlrev_b32_e32 v68, 3, v63
	v_lshrrev_b16 v64, 4, v64
	v_and_b32_e32 v32, 0xffff, v32
	v_lshrrev_b32_e32 v69, 16, v69
	v_sub_nc_u16 v66, v21, v66
	global_load_b64 v[74:75], v68, s[4:5] offset:96
	v_sub_nc_u16 v65, v22, v67
	v_mul_lo_u16 v68, v64, 27
	v_lshlrev_b32_e32 v33, 1, v33
	v_mul_u32_u24_e32 v32, 0xa2, v32
	s_delay_alu instid0(VALU_DEP_4) | instskip(NEXT) | instid1(VALU_DEP_4)
	v_lshrrev_b16 v65, 1, v65
	v_sub_nc_u16 v68, v24, v68
	s_delay_alu instid0(VALU_DEP_2) | instskip(SKIP_2) | instid1(VALU_DEP_4)
	v_add_nc_u16 v65, v65, v67
	v_and_b32_e32 v67, 0xffff, v66
	v_sub_nc_u16 v66, v30, v69
	v_and_b32_e32 v68, 0xffff, v68
	s_delay_alu instid0(VALU_DEP_4) | instskip(NEXT) | instid1(VALU_DEP_4)
	v_lshrrev_b16 v65, 4, v65
	v_lshlrev_b32_e32 v70, 3, v67
	s_delay_alu instid0(VALU_DEP_4) | instskip(NEXT) | instid1(VALU_DEP_3)
	v_lshrrev_b16 v66, 1, v66
	v_mul_lo_u16 v71, v65, 27
	global_load_b64 v[76:77], v70, s[4:5] offset:96
	v_add_nc_u16 v66, v66, v69
	v_lshlrev_b32_e32 v69, 3, v68
	s_delay_alu instid0(VALU_DEP_2) | instskip(SKIP_2) | instid1(VALU_DEP_1)
	v_lshrrev_b16 v66, 4, v66
	global_load_b64 v[78:79], v69, s[4:5] offset:96
	v_sub_nc_u16 v70, v22, v71
	v_and_b32_e32 v69, 0xffff, v70
	v_mul_lo_u16 v70, v66, 27
	s_delay_alu instid0(VALU_DEP_2) | instskip(NEXT) | instid1(VALU_DEP_2)
	v_lshlrev_b32_e32 v71, 3, v69
	v_sub_nc_u16 v70, v30, v70
	global_load_b64 v[80:81], v71, s[4:5] offset:96
	v_and_b32_e32 v70, 0xffff, v70
	s_delay_alu instid0(VALU_DEP_1)
	v_lshlrev_b32_e32 v71, 3, v70
	global_load_b64 v[82:83], v71, s[4:5] offset:96
	ds_load_u16 v84, v18 offset:1134
	ds_load_u16 v85, v18 offset:2268
	;; [unrolled: 1-line block ×16, first 2 shown]
	s_waitcnt vmcnt(8)
	v_lshrrev_b32_e32 v86, 16, v5
	v_lshrrev_b32_e32 v95, 16, v6
	s_waitcnt lgkmcnt(15)
	s_delay_alu instid0(VALU_DEP_2) | instskip(SKIP_3) | instid1(VALU_DEP_3)
	v_mul_f16_e32 v93, v84, v86
	v_mul_f16_e32 v86, v59, v86
	s_waitcnt lgkmcnt(14)
	v_mul_f16_e32 v102, v85, v95
	v_fmac_f16_e32 v93, v59, v5
	s_waitcnt vmcnt(7)
	v_lshrrev_b32_e32 v59, 16, v7
	v_fma_f16 v5, v84, v5, -v86
	v_mul_f16_e32 v84, v58, v95
	v_lshrrev_b32_e32 v95, 16, v8
	v_fmac_f16_e32 v102, v58, v6
	s_waitcnt lgkmcnt(13)
	v_mul_f16_e32 v86, v87, v59
	v_mul_f16_e32 v58, v56, v59
	v_fma_f16 v6, v85, v6, -v84
	s_waitcnt vmcnt(6)
	v_lshrrev_b32_e32 v59, 16, v9
	v_lshrrev_b32_e32 v84, 16, v10
	v_fmac_f16_e32 v86, v56, v7
	s_waitcnt lgkmcnt(6)
	v_mul_f16_e32 v56, v94, v95
	v_fma_f16 v7, v87, v7, -v58
	v_mul_f16_e32 v58, v55, v95
	s_delay_alu instid0(VALU_DEP_3) | instskip(SKIP_2) | instid1(VALU_DEP_4)
	v_fmac_f16_e32 v56, v55, v8
	v_mul_f16_e32 v55, v88, v59
	v_mul_f16_e32 v59, v54, v59
	v_fma_f16 v8, v94, v8, -v58
	s_waitcnt lgkmcnt(5)
	v_mul_f16_e32 v58, v96, v84
	s_waitcnt vmcnt(5)
	v_lshrrev_b32_e32 v85, 16, v72
	v_fmac_f16_e32 v55, v54, v9
	v_mul_f16_e32 v54, v52, v84
	v_fma_f16 v9, v88, v9, -v59
	v_fmac_f16_e32 v58, v52, v10
	v_mul_f16_e32 v52, v89, v85
	v_mul_f16_e32 v59, v53, v85
	v_lshrrev_b32_e32 v84, 16, v73
	v_fma_f16 v10, v96, v10, -v54
	s_waitcnt vmcnt(4)
	v_lshrrev_b32_e32 v54, 16, v74
	v_fmac_f16_e32 v52, v53, v72
	v_fma_f16 v53, v89, v72, -v59
	s_waitcnt lgkmcnt(4)
	v_mul_f16_e32 v59, v97, v84
	v_mul_f16_e32 v72, v50, v84
	;; [unrolled: 1-line block ×4, first 2 shown]
	v_lshrrev_b32_e32 v85, 16, v75
	v_fmac_f16_e32 v59, v50, v73
	v_fma_f16 v50, v97, v73, -v72
	v_fmac_f16_e32 v84, v51, v74
	v_fma_f16 v51, v90, v74, -v54
	ds_load_u16 v74, v18 offset:3024
	s_waitcnt lgkmcnt(4)
	v_mul_f16_e32 v54, v98, v85
	v_mul_f16_e32 v72, v46, v85
	ds_load_u16 v88, v18 offset:3150
	s_waitcnt vmcnt(3)
	v_lshrrev_b32_e32 v73, 16, v76
	v_lshrrev_b32_e32 v85, 16, v77
	v_fmac_f16_e32 v54, v46, v75
	v_fma_f16 v46, v98, v75, -v72
	v_add_f16_e32 v94, v35, v86
	v_mul_f16_e32 v72, v91, v73
	v_mul_f16_e32 v73, v47, v73
	s_waitcnt lgkmcnt(4)
	v_mul_f16_e32 v75, v99, v85
	s_waitcnt vmcnt(2)
	v_lshrrev_b32_e32 v87, 16, v78
	v_mul_f16_e32 v85, v42, v85
	v_fmac_f16_e32 v72, v47, v76
	v_fma_f16 v47, v91, v76, -v73
	v_lshrrev_b32_e32 v76, 16, v79
	v_mul_f16_e32 v73, v92, v87
	v_fmac_f16_e32 v75, v42, v77
	v_fma_f16 v42, v99, v77, -v85
	v_mul_f16_e32 v77, v44, v87
	ds_load_u16 v85, v18 offset:3276
	s_waitcnt lgkmcnt(2)
	v_mul_f16_e32 v87, v74, v76
	v_mul_f16_e32 v76, v49, v76
	v_fmac_f16_e32 v73, v44, v78
	v_fma_f16 v77, v92, v78, -v77
	s_waitcnt vmcnt(1)
	v_lshrrev_b32_e32 v44, 16, v80
	v_lshrrev_b32_e32 v78, 16, v81
	v_fmac_f16_e32 v87, v49, v79
	v_fma_f16 v49, v74, v79, -v76
	ds_load_u16 v79, v18
	v_mul_f16_e32 v89, v100, v44
	s_waitcnt lgkmcnt(2)
	v_mul_f16_e32 v74, v88, v78
	v_mul_f16_e32 v44, v43, v44
	s_delay_alu instid0(VALU_DEP_3)
	v_fmac_f16_e32 v89, v43, v80
	s_waitcnt vmcnt(0)
	v_lshrrev_b32_e32 v76, 16, v82
	v_mul_f16_e32 v43, v45, v78
	v_fmac_f16_e32 v74, v45, v81
	v_lshrrev_b32_e32 v45, 16, v83
	v_fma_f16 v44, v100, v80, -v44
	v_mul_f16_e32 v78, v101, v76
	v_mul_f16_e32 v76, v40, v76
	v_fma_f16 v43, v88, v81, -v43
	s_waitcnt lgkmcnt(1)
	v_mul_f16_e32 v80, v85, v45
	v_mul_f16_e32 v45, v41, v45
	v_fmac_f16_e32 v78, v40, v82
	v_add_f16_e32 v40, v93, v102
	v_sub_f16_e32 v81, v5, v6
	v_fmac_f16_e32 v80, v41, v83
	v_fma_f16 v41, v85, v83, -v45
	v_add_f16_e32 v45, v36, v93
	v_fmac_f16_e32 v36, -0.5, v40
	v_add_f16_e32 v40, v5, v6
	s_waitcnt lgkmcnt(0)
	v_add_f16_e32 v5, v79, v5
	v_fma_f16 v76, v101, v82, -v76
	ds_load_u16 v82, v18 offset:126
	ds_load_u16 v83, v18 offset:252
	;; [unrolled: 1-line block ×7, first 2 shown]
	s_waitcnt lgkmcnt(0)
	v_fmac_f16_e32 v79, -0.5, v40
	v_add_f16_e32 v40, v45, v102
	v_sub_f16_e32 v45, v93, v102
	v_add_f16_e32 v5, v5, v6
	v_add_f16_e32 v6, v86, v56
	v_fmamk_f16 v93, v81, 0xbaee, v36
	v_fmac_f16_e32 v36, 0x3aee, v81
	v_fmamk_f16 v81, v45, 0x3aee, v79
	v_fmac_f16_e32 v79, 0xbaee, v45
	v_add_f16_e32 v45, v7, v8
	v_fmac_f16_e32 v35, -0.5, v6
	v_sub_f16_e32 v6, v7, v8
	v_add_f16_e32 v7, v82, v7
	s_barrier
	v_fmac_f16_e32 v82, -0.5, v45
	v_add_f16_e32 v45, v94, v56
	v_sub_f16_e32 v56, v86, v56
	v_fmamk_f16 v86, v6, 0xbaee, v35
	v_fmac_f16_e32 v35, 0x3aee, v6
	v_add_f16_e32 v6, v55, v58
	v_add_f16_e32 v8, v7, v8
	v_fmamk_f16 v94, v56, 0x3aee, v82
	v_fmac_f16_e32 v82, 0xbaee, v56
	v_add_f16_e32 v7, v9, v10
	v_add_f16_e32 v56, v34, v55
	v_fmac_f16_e32 v34, -0.5, v6
	v_sub_f16_e32 v6, v9, v10
	v_add_f16_e32 v9, v83, v9
	v_fmac_f16_e32 v83, -0.5, v7
	v_add_f16_e32 v7, v56, v58
	v_sub_f16_e32 v55, v55, v58
	v_fmamk_f16 v56, v6, 0xbaee, v34
	v_fmac_f16_e32 v34, 0x3aee, v6
	v_add_f16_e32 v6, v52, v59
	v_add_f16_e32 v9, v9, v10
	v_fmamk_f16 v10, v55, 0x3aee, v83
	v_fmac_f16_e32 v83, 0xbaee, v55
	v_add_f16_e32 v55, v53, v50
	v_add_f16_e32 v58, v16, v52
	v_fmac_f16_e32 v16, -0.5, v6
	v_sub_f16_e32 v6, v53, v50
	v_add_f16_e32 v53, v85, v53
	;; [unrolled: 14-line block ×7, first 2 shown]
	v_fmac_f16_e32 v71, -0.5, v74
	v_add_f16_e32 v74, v89, v80
	v_sub_f16_e32 v78, v78, v80
	v_fmamk_f16 v80, v6, 0xbaee, v13
	v_fmac_f16_e32 v13, 0x3aee, v6
	v_and_b32_e32 v6, 0xffff, v37
	v_add_f16_e32 v37, v76, v41
	v_lshlrev_b32_e32 v41, 1, v48
	v_add3_u32 v76, 0, v32, v33
	v_and_b32_e32 v32, 0xffff, v39
	v_mul_u32_u24_e32 v6, 0xa2, v6
	buffer_gl0_inv
	ds_store_b16 v76, v40
	ds_store_b16 v76, v93 offset:54
	ds_store_b16 v76, v36 offset:108
	v_mul_u32_u24_e32 v32, 0xa2, v32
	v_add3_u32 v39, 0, v6, v41
	v_lshlrev_b32_e32 v6, 1, v60
	ds_store_b16 v39, v45
	ds_store_b16 v39, v86 offset:54
	ds_store_b16 v39, v35 offset:108
	v_add3_u32 v36, 0, v32, v6
	v_and_b32_e32 v6, 0xffff, v38
	v_lshlrev_b32_e32 v32, 1, v61
	v_lshlrev_b32_e32 v33, 1, v63
	;; [unrolled: 1-line block ×3, first 2 shown]
	ds_store_b16 v36, v7
	ds_store_b16 v36, v56 offset:54
	ds_store_b16 v36, v34 offset:108
	v_mul_u32_u24_e32 v6, 0xa2, v6
	v_lshlrev_b32_e32 v40, 1, v68
	v_lshlrev_b32_e32 v41, 1, v69
	;; [unrolled: 1-line block ×3, first 2 shown]
	v_fmamk_f16 v48, v78, 0x3aee, v71
	v_add3_u32 v35, 0, v6, v32
	v_and_b32_e32 v6, 0xffff, v57
	v_and_b32_e32 v32, 0xffff, v62
	ds_store_b16 v35, v55
	ds_store_b16 v35, v58 offset:54
	ds_store_b16 v35, v16 offset:108
	v_mul_u32_u24_e32 v6, 0xa2, v6
	v_mul_u32_u24_e32 v7, 0xa2, v32
	v_and_b32_e32 v32, 0xffff, v64
	v_and_b32_e32 v16, 0xffff, v66
	v_fmac_f16_e32 v71, 0xbaee, v78
	v_add3_u32 v45, 0, v6, v33
	v_add3_u32 v38, 0, v7, v38
	v_mul_u32_u24_e32 v6, 0xa2, v32
	v_and_b32_e32 v7, 0xffff, v65
	ds_store_b16 v45, v52
	ds_store_b16 v45, v59 offset:54
	ds_store_b16 v45, v15 offset:108
	ds_store_b16 v38, v54
	ds_store_b16 v38, v75 offset:54
	ds_store_b16 v38, v14 offset:108
	v_add3_u32 v40, 0, v6, v40
	v_mul_u32_u24_e32 v6, 0xa2, v7
	v_mul_u32_u24_e32 v7, 0xa2, v16
	s_delay_alu instid0(VALU_DEP_2) | instskip(NEXT) | instid1(VALU_DEP_2)
	v_add3_u32 v41, 0, v6, v41
	v_add3_u32 v52, 0, v7, v60
	ds_store_b16 v40, v72
	ds_store_b16 v40, v84 offset:54
	ds_store_b16 v40, v12 offset:108
	ds_store_b16 v41, v73
	ds_store_b16 v41, v87 offset:54
	ds_store_b16 v41, v11 offset:108
	;; [unrolled: 3-line block ×3, first 2 shown]
	s_waitcnt lgkmcnt(0)
	s_barrier
	buffer_gl0_inv
	ds_load_u16 v54, v18 offset:2520
	ds_load_u16 v58, v18 offset:2646
	;; [unrolled: 1-line block ×9, first 2 shown]
	ds_load_u16 v11, v18
	ds_load_u16 v34, v18 offset:126
	ds_load_u16 v33, v18 offset:252
	;; [unrolled: 1-line block ×17, first 2 shown]
	s_waitcnt lgkmcnt(0)
	s_barrier
	buffer_gl0_inv
	ds_store_b16 v76, v5
	ds_store_b16 v76, v81 offset:54
	ds_store_b16 v76, v79 offset:108
	ds_store_b16 v39, v8
	ds_store_b16 v39, v94 offset:54
	ds_store_b16 v39, v82 offset:108
	ds_store_b16 v36, v9
	ds_store_b16 v36, v10 offset:54
	ds_store_b16 v36, v83 offset:108
	ds_store_b16 v35, v50
	ds_store_b16 v35, v53 offset:54
	ds_store_b16 v35, v85 offset:108
	ds_store_b16 v45, v46
	ds_store_b16 v45, v51 offset:54
	ds_store_b16 v45, v88 offset:108
	ds_store_b16 v38, v42
	ds_store_b16 v38, v47 offset:54
	ds_store_b16 v38, v90 offset:108
	v_mov_b32_e32 v5, 0
	v_subrev_nc_u32_e32 v8, 18, v0
	ds_store_b16 v40, v49
	ds_store_b16 v40, v77 offset:54
	ds_store_b16 v40, v91 offset:108
	ds_store_b16 v41, v43
	ds_store_b16 v41, v44 offset:54
	ds_store_b16 v41, v92 offset:108
	;; [unrolled: 3-line block ×3, first 2 shown]
	s_waitcnt lgkmcnt(0)
	v_cndmask_b32_e64 v10, v8, v19, s0
	v_lshlrev_b64 v[8:9], 2, v[4:5]
	s_barrier
	buffer_gl0_inv
	v_lshlrev_b32_e32 v4, 1, v10
	v_mul_lo_u16 v10, 0xcb, v26
	v_add_co_u32 v8, s0, s4, v8
	s_delay_alu instid0(VALU_DEP_1) | instskip(NEXT) | instid1(VALU_DEP_4)
	v_add_co_ci_u32_e64 v9, s0, s5, v9, s0
	v_lshlrev_b64 v[12:13], 2, v[4:5]
	s_delay_alu instid0(VALU_DEP_4)
	v_lshrrev_b16 v5, 14, v10
	global_load_b64 v[9:10], v[8:9], off offset:312
	v_mul_lo_u16 v8, 0xcb, v27
	v_add_co_u32 v26, s0, s4, v12
	v_mul_lo_u16 v19, 0x51, v5
	v_add_co_ci_u32_e64 v27, s0, s5, v13, s0
	s_delay_alu instid0(VALU_DEP_4) | instskip(SKIP_1) | instid1(VALU_DEP_4)
	v_lshrrev_b16 v13, 14, v8
	v_cmp_lt_u32_e64 s0, 17, v0
	v_sub_nc_u16 v8, v1, v19
	global_load_b64 v[26:27], v[26:27], off offset:312
	v_mul_lo_u16 v12, 0x51, v13
	v_and_b32_e32 v82, 0xff, v8
	v_mul_u32_u24_e32 v8, 0x6523, v25
	s_delay_alu instid0(VALU_DEP_3) | instskip(NEXT) | instid1(VALU_DEP_3)
	v_sub_nc_u16 v12, v17, v12
	v_lshlrev_b32_e32 v19, 3, v82
	s_delay_alu instid0(VALU_DEP_3) | instskip(SKIP_1) | instid1(VALU_DEP_4)
	v_lshrrev_b32_e32 v8, 21, v8
	v_lshlrev_b32_e32 v82, 1, v82
	v_and_b32_e32 v25, 0xff, v12
	v_mul_u32_u24_e32 v12, 0x6523, v23
	global_load_b64 v[35:36], v19, s[4:5] offset:312
	v_mul_lo_u16 v8, 0x51, v8
	v_lshlrev_b32_e32 v19, 3, v25
	v_lshrrev_b32_e32 v23, 21, v12
	s_delay_alu instid0(VALU_DEP_3) | instskip(SKIP_4) | instid1(VALU_DEP_3)
	v_sub_nc_u16 v8, v20, v8
	global_load_b64 v[37:38], v19, s[4:5] offset:312
	v_mul_lo_u16 v12, 0x51, v23
	v_and_b32_e32 v85, 0xffff, v8
	v_mul_u32_u24_e32 v8, 0x6523, v28
	v_sub_nc_u16 v12, v21, v12
	s_delay_alu instid0(VALU_DEP_3) | instskip(NEXT) | instid1(VALU_DEP_3)
	v_lshlrev_b32_e32 v19, 3, v85
	v_lshrrev_b32_e32 v86, 21, v8
	v_mul_u32_u24_e32 v8, 0x6523, v29
	s_delay_alu instid0(VALU_DEP_4) | instskip(SKIP_4) | instid1(VALU_DEP_3)
	v_and_b32_e32 v83, 0xffff, v12
	global_load_b64 v[39:40], v19, s[4:5] offset:312
	v_mul_lo_u16 v12, 0x51, v86
	v_lshrrev_b32_e32 v87, 21, v8
	v_lshlrev_b32_e32 v19, 3, v83
	v_sub_nc_u16 v8, v24, v12
	v_mul_u32_u24_e32 v12, 0x6523, v31
	global_load_b64 v[28:29], v19, s[4:5] offset:312
	v_mul_lo_u16 v19, 0x51, v87
	v_and_b32_e32 v88, 0xffff, v8
	v_lshrrev_b32_e32 v8, 21, v12
	s_delay_alu instid0(VALU_DEP_3) | instskip(NEXT) | instid1(VALU_DEP_3)
	v_sub_nc_u16 v12, v22, v19
	v_lshlrev_b32_e32 v19, 3, v88
	s_delay_alu instid0(VALU_DEP_3) | instskip(NEXT) | instid1(VALU_DEP_3)
	v_mul_lo_u16 v8, 0x51, v8
	v_and_b32_e32 v89, 0xffff, v12
	global_load_b64 v[21:22], v19, s[4:5] offset:312
	v_sub_nc_u16 v8, v30, v8
	v_lshlrev_b32_e32 v12, 3, v89
	s_delay_alu instid0(VALU_DEP_2)
	v_and_b32_e32 v90, 0xffff, v8
	global_load_b64 v[30:31], v12, s[4:5] offset:312
	v_lshlrev_b32_e32 v8, 3, v90
	global_load_b64 v[41:42], v8, s[4:5] offset:312
	ds_load_u16 v12, v18 offset:1134
	ds_load_u16 v43, v18 offset:2268
	;; [unrolled: 1-line block ×16, first 2 shown]
	s_waitcnt vmcnt(8)
	v_lshrrev_b32_e32 v19, 16, v9
	v_lshrrev_b32_e32 v45, 16, v10
	s_waitcnt lgkmcnt(15)
	s_delay_alu instid0(VALU_DEP_2)
	v_mul_f16_e32 v20, v12, v19
	v_mul_f16_e32 v19, v60, v19
	s_waitcnt lgkmcnt(14)
	v_mul_f16_e32 v24, v43, v45
	v_mul_f16_e32 v45, v62, v45
	v_fmac_f16_e32 v20, v60, v9
	s_waitcnt vmcnt(7)
	v_lshrrev_b32_e32 v46, 16, v26
	v_fma_f16 v52, v12, v9, -v19
	v_lshrrev_b32_e32 v9, 16, v27
	v_fmac_f16_e32 v24, v62, v10
	v_fma_f16 v45, v43, v10, -v45
	s_waitcnt lgkmcnt(13)
	v_mul_f16_e32 v19, v44, v46
	v_mul_f16_e32 v10, v56, v46
	s_waitcnt lgkmcnt(12)
	v_mul_f16_e32 v46, v47, v9
	v_mul_f16_e32 v9, v61, v9
	v_fmac_f16_e32 v19, v56, v26
	v_fma_f16 v70, v44, v26, -v10
	s_delay_alu instid0(VALU_DEP_4) | instskip(NEXT) | instid1(VALU_DEP_4)
	v_fmac_f16_e32 v46, v61, v27
	v_fma_f16 v62, v47, v27, -v9
	s_waitcnt vmcnt(6)
	v_lshrrev_b32_e32 v12, 16, v35
	v_lshrrev_b32_e32 v10, 16, v36
	ds_load_u16 v26, v18 offset:3024
	ds_load_u16 v27, v18 offset:3150
	;; [unrolled: 1-line block ×3, first 2 shown]
	s_waitcnt lgkmcnt(10)
	v_mul_f16_e32 v56, v53, v12
	v_mul_f16_e32 v9, v55, v12
	;; [unrolled: 1-line block ×3, first 2 shown]
	s_waitcnt vmcnt(5)
	v_lshrrev_b32_e32 v12, 16, v37
	v_mul_f16_e32 v10, v54, v10
	v_fmac_f16_e32 v56, v55, v35
	v_fma_f16 v72, v53, v35, -v9
	v_lshrrev_b32_e32 v9, 16, v38
	s_waitcnt lgkmcnt(9)
	v_mul_f16_e32 v47, v63, v12
	v_fma_f16 v73, v48, v36, -v10
	v_mul_f16_e32 v10, v57, v12
	v_fmac_f16_e32 v61, v54, v36
	s_delay_alu instid0(VALU_DEP_4)
	v_fmac_f16_e32 v47, v57, v37
	v_mul_f16_e32 v57, v49, v9
	v_mul_f16_e32 v9, v58, v9
	s_waitcnt vmcnt(4)
	v_lshrrev_b32_e32 v12, 16, v39
	v_fma_f16 v71, v63, v37, -v10
	v_lshrrev_b32_e32 v10, 16, v40
	v_fmac_f16_e32 v57, v58, v38
	v_fma_f16 v63, v49, v38, -v9
	v_mul_f16_e32 v9, v65, v12
	s_waitcnt lgkmcnt(8)
	v_mul_f16_e32 v55, v67, v12
	v_mul_f16_e32 v60, v50, v10
	s_waitcnt vmcnt(3)
	v_lshrrev_b32_e32 v12, 16, v28
	v_mul_f16_e32 v10, v59, v10
	v_fma_f16 v68, v67, v39, -v9
	v_lshrrev_b32_e32 v9, 16, v29
	v_fmac_f16_e32 v60, v59, v40
	s_waitcnt lgkmcnt(7)
	v_mul_f16_e32 v44, v76, v12
	v_fma_f16 v67, v50, v40, -v10
	v_mul_f16_e32 v10, v66, v12
	v_mul_f16_e32 v50, v51, v9
	;; [unrolled: 1-line block ×3, first 2 shown]
	v_fmac_f16_e32 v44, v66, v28
	v_fmac_f16_e32 v55, v65, v39
	v_fma_f16 v66, v76, v28, -v10
	s_waitcnt vmcnt(2)
	v_lshrrev_b32_e32 v12, 16, v21
	v_lshrrev_b32_e32 v10, 16, v22
	v_fma_f16 v58, v51, v29, -v9
	v_fmac_f16_e32 v50, v64, v29
	v_add_f16_e32 v37, v15, v44
	s_waitcnt lgkmcnt(6)
	v_mul_f16_e32 v53, v77, v12
	v_mul_f16_e32 v9, v69, v12
	s_waitcnt lgkmcnt(2)
	v_mul_f16_e32 v59, v26, v10
	s_waitcnt vmcnt(1)
	v_lshrrev_b32_e32 v12, 16, v30
	v_mul_f16_e32 v10, v78, v10
	v_fmac_f16_e32 v53, v69, v21
	v_fma_f16 v64, v77, v21, -v9
	v_lshrrev_b32_e32 v9, 16, v31
	v_mul_f16_e32 v43, v81, v12
	v_mul_f16_e32 v12, v74, v12
	v_fma_f16 v65, v26, v22, -v10
	s_waitcnt vmcnt(0)
	v_lshrrev_b32_e32 v10, 16, v41
	s_waitcnt lgkmcnt(1)
	v_mul_f16_e32 v48, v27, v9
	v_mul_f16_e32 v9, v80, v9
	v_fma_f16 v51, v81, v30, -v12
	v_lshrrev_b32_e32 v12, 16, v42
	v_mul_f16_e32 v49, v79, v10
	v_mul_f16_e32 v10, v75, v10
	v_fmac_f16_e32 v43, v74, v30
	v_fma_f16 v54, v27, v31, -v9
	s_waitcnt lgkmcnt(0)
	v_mul_f16_e32 v69, v91, v12
	v_mul_f16_e32 v12, v84, v12
	v_add_f16_e32 v9, v20, v24
	v_fmac_f16_e32 v49, v75, v41
	v_fma_f16 v74, v79, v41, -v10
	v_add_f16_e32 v10, v19, v46
	v_fma_f16 v75, v91, v42, -v12
	v_add_f16_e32 v12, v56, v61
	v_add_f16_e32 v21, v11, v20
	v_fmac_f16_e32 v11, -0.5, v9
	v_sub_f16_e32 v9, v52, v45
	v_add_f16_e32 v26, v34, v19
	v_fmac_f16_e32 v34, -0.5, v10
	v_sub_f16_e32 v10, v70, v62
	;; [unrolled: 3-line block ×3, first 2 shown]
	v_fmac_f16_e32 v59, v78, v22
	v_fmamk_f16 v22, v9, 0xbaee, v11
	v_fmac_f16_e32 v11, 0x3aee, v9
	v_fmamk_f16 v28, v10, 0xbaee, v34
	v_add_f16_e32 v9, v47, v57
	v_fmac_f16_e32 v34, 0x3aee, v10
	v_fmamk_f16 v29, v12, 0xbaee, v33
	v_add_f16_e32 v10, v55, v60
	v_fmac_f16_e32 v33, 0x3aee, v12
	v_add_f16_e32 v12, v44, v50
	v_fmac_f16_e32 v48, v80, v31
	v_fmac_f16_e32 v69, v84, v42
	v_add_f16_e32 v30, v32, v47
	v_fmac_f16_e32 v32, -0.5, v9
	v_sub_f16_e32 v9, v71, v63
	v_add_f16_e32 v31, v16, v55
	v_fmac_f16_e32 v16, -0.5, v10
	v_sub_f16_e32 v10, v68, v67
	v_fmac_f16_e32 v15, -0.5, v12
	v_sub_f16_e32 v12, v66, v58
	v_fmamk_f16 v35, v9, 0xbaee, v32
	v_fmac_f16_e32 v32, 0x3aee, v9
	v_fmamk_f16 v36, v10, 0xbaee, v16
	v_add_f16_e32 v9, v53, v59
	v_fmac_f16_e32 v16, 0x3aee, v10
	v_fmamk_f16 v39, v12, 0xbaee, v15
	v_add_f16_e32 v10, v43, v48
	v_fmac_f16_e32 v15, 0x3aee, v12
	v_add_f16_e32 v12, v49, v69
	v_cndmask_b32_e64 v41, 0, 0x1e6, s0
	v_add_f16_e32 v38, v14, v53
	v_fmac_f16_e32 v14, -0.5, v9
	v_sub_f16_e32 v9, v64, v65
	v_add_f16_e32 v40, v6, v43
	v_fmac_f16_e32 v6, -0.5, v10
	v_add_f16_e32 v42, v7, v49
	v_fmac_f16_e32 v7, -0.5, v12
	v_sub_f16_e32 v12, v51, v54
	v_add3_u32 v4, 0, v41, v4
	v_sub_f16_e32 v41, v74, v75
	v_add_f16_e32 v21, v21, v24
	v_fmamk_f16 v91, v9, 0xbaee, v14
	v_fmac_f16_e32 v14, 0x3aee, v9
	v_fmamk_f16 v10, v12, 0xbaee, v6
	v_fmac_f16_e32 v6, 0x3aee, v12
	;; [unrolled: 2-line block ×3, first 2 shown]
	v_and_b32_e32 v41, 0xffff, v5
	ds_load_u16 v81, v18
	ds_load_u16 v80, v18 offset:126
	ds_load_u16 v79, v18 offset:252
	;; [unrolled: 1-line block ×7, first 2 shown]
	s_waitcnt lgkmcnt(0)
	s_barrier
	buffer_gl0_inv
	ds_store_b16 v18, v21
	ds_store_b16 v18, v22 offset:162
	ds_store_b16 v18, v11 offset:324
	v_and_b32_e32 v11, 0xffff, v13
	v_add_f16_e32 v21, v26, v46
	v_mul_u32_u24_e32 v41, 0x1e6, v41
	v_lshlrev_b32_e32 v22, 1, v25
	v_lshlrev_b32_e32 v25, 1, v83
	v_mul_u32_u24_e32 v83, 0x1e6, v11
	ds_store_b16 v4, v21
	ds_store_b16 v4, v28 offset:162
	ds_store_b16 v4, v34 offset:324
	v_mul_u32_u24_e32 v21, 0x1e6, v23
	v_add3_u32 v82, 0, v41, v82
	v_add_f16_e32 v27, v27, v61
	v_add_f16_e32 v30, v30, v57
	;; [unrolled: 1-line block ×3, first 2 shown]
	v_add3_u32 v83, 0, v83, v22
	v_lshl_add_u32 v84, v85, 1, 0
	v_lshlrev_b32_e32 v26, 1, v88
	v_add3_u32 v85, 0, v21, v25
	v_mul_u32_u24_e32 v21, 0x1e6, v86
	v_lshlrev_b32_e32 v41, 1, v89
	ds_store_b16 v82, v27
	ds_store_b16 v82, v29 offset:162
	ds_store_b16 v82, v33 offset:324
	ds_store_b16 v83, v30
	ds_store_b16 v83, v35 offset:162
	ds_store_b16 v83, v32 offset:324
	;; [unrolled: 1-line block ×5, first 2 shown]
	v_mul_u32_u24_e32 v16, 0x1e6, v87
	v_add_f16_e32 v37, v37, v50
	v_add_f16_e32 v38, v38, v59
	v_add3_u32 v86, 0, v21, v26
	v_add_f16_e32 v11, v40, v48
	v_add3_u32 v87, 0, v16, v41
	v_add_f16_e32 v13, v42, v69
	ds_store_b16 v85, v37
	ds_store_b16 v85, v39 offset:162
	ds_store_b16 v85, v15 offset:324
	v_lshl_add_u32 v88, v90, 1, 0
	ds_store_b16 v86, v38
	ds_store_b16 v86, v91 offset:162
	ds_store_b16 v86, v14 offset:324
	ds_store_b16 v87, v11
	ds_store_b16 v87, v10 offset:162
	ds_store_b16 v87, v6 offset:324
	;; [unrolled: 1-line block ×5, first 2 shown]
	s_waitcnt lgkmcnt(0)
	s_barrier
	buffer_gl0_inv
	ds_load_u16 v22, v18
	ds_load_u16 v21, v18 offset:126
	ds_load_u16 v25, v18 offset:2556
	ds_load_u16 v26, v18 offset:1098
	ds_load_u16 v32, v18 offset:972
	ds_load_u16 v30, v18 offset:738
	ds_load_u16 v27, v18 offset:612
	ds_load_u16 v37, v18 offset:486
	ds_load_u16 v23, v18 offset:252
	ds_load_u16 v36, v18 offset:2430
	ds_load_u16 v33, v18 offset:2196
	ds_load_u16 v28, v18 offset:2070
	ds_load_u16 v40, v18 offset:1944
	ds_load_u16 v34, v18 offset:1710
	ds_load_u16 v29, v18 offset:1584
	ds_load_u16 v41, v18 offset:1458
	ds_load_u16 v35, v18 offset:1224
	ds_load_u16 v39, v18 offset:3168
	ds_load_u16 v31, v18 offset:3042
	ds_load_u16 v42, v18 offset:2916
	ds_load_u16 v38, v18 offset:2682
	v_cmp_gt_u32_e64 s0, 54, v0
                                        ; implicit-def: $vgpr14
	s_delay_alu instid0(VALU_DEP_1)
	s_and_saveexec_b32 s1, s0
	s_cbranch_execz .LBB0_13
; %bb.12:
	ds_load_u16 v11, v18 offset:378
	ds_load_u16 v10, v18 offset:864
	;; [unrolled: 1-line block ×7, first 2 shown]
.LBB0_13:
	s_or_b32 exec_lo, exec_lo, s1
	v_add_f16_e32 v15, v52, v45
	v_add_f16_e32 v16, v81, v52
	v_sub_f16_e32 v20, v20, v24
	v_add_f16_e32 v24, v70, v62
	v_add_f16_e32 v52, v72, v73
	v_fmac_f16_e32 v81, -0.5, v15
	v_add_f16_e32 v15, v80, v70
	v_add_f16_e32 v45, v16, v45
	v_fmac_f16_e32 v80, -0.5, v24
	v_sub_f16_e32 v16, v19, v46
	v_sub_f16_e32 v19, v56, v61
	v_add_f16_e32 v46, v15, v62
	v_add_f16_e32 v15, v79, v72
	v_fmac_f16_e32 v79, -0.5, v52
	v_fmamk_f16 v52, v16, 0x3aee, v80
	v_fmac_f16_e32 v80, 0xbaee, v16
	v_add_f16_e32 v16, v78, v71
	v_add_f16_e32 v56, v15, v73
	;; [unrolled: 1-line block ×3, first 2 shown]
	v_fmamk_f16 v61, v19, 0x3aee, v79
	v_fmac_f16_e32 v79, 0xbaee, v19
	v_add_f16_e32 v19, v68, v67
	v_fmamk_f16 v24, v20, 0x3aee, v81
	v_fmac_f16_e32 v78, -0.5, v15
	v_sub_f16_e32 v15, v47, v57
	v_add_f16_e32 v47, v16, v63
	v_add_f16_e32 v16, v77, v68
	v_fmac_f16_e32 v77, -0.5, v19
	v_sub_f16_e32 v19, v55, v60
	v_fmamk_f16 v55, v15, 0x3aee, v78
	v_fmac_f16_e32 v78, 0xbaee, v15
	v_add_f16_e32 v57, v16, v67
	v_add_f16_e32 v15, v66, v58
	;; [unrolled: 1-line block ×3, first 2 shown]
	v_fmamk_f16 v60, v19, 0x3aee, v77
	v_fmac_f16_e32 v77, 0xbaee, v19
	v_add_f16_e32 v19, v64, v65
	v_fmac_f16_e32 v76, -0.5, v15
	v_sub_f16_e32 v15, v44, v50
	v_add_f16_e32 v44, v16, v58
	v_add_f16_e32 v16, v5, v64
	v_fmac_f16_e32 v5, -0.5, v19
	v_sub_f16_e32 v19, v53, v59
	v_fmamk_f16 v50, v15, 0x3aee, v76
	v_fmac_f16_e32 v76, 0xbaee, v15
	v_add_f16_e32 v53, v16, v65
	v_add_f16_e32 v15, v51, v54
	;; [unrolled: 1-line block ×3, first 2 shown]
	v_fmac_f16_e32 v81, 0xbaee, v20
	v_fmamk_f16 v58, v19, 0x3aee, v5
	v_fmac_f16_e32 v5, 0xbaee, v19
	v_add_f16_e32 v19, v12, v51
	v_fmac_f16_e32 v12, -0.5, v15
	v_sub_f16_e32 v20, v43, v48
	v_add_f16_e32 v43, v8, v74
	v_fmac_f16_e32 v8, -0.5, v16
	v_sub_f16_e32 v48, v49, v69
	v_add_f16_e32 v15, v19, v54
	v_fmamk_f16 v19, v20, 0x3aee, v12
	v_fmac_f16_e32 v12, 0xbaee, v20
	v_add_f16_e32 v20, v43, v75
	v_fmamk_f16 v16, v48, 0x3aee, v8
	v_fmac_f16_e32 v8, 0xbaee, v48
	s_waitcnt lgkmcnt(0)
	s_barrier
	buffer_gl0_inv
	ds_store_b16 v18, v45
	ds_store_b16 v18, v24 offset:162
	ds_store_b16 v18, v81 offset:324
	ds_store_b16 v4, v46
	ds_store_b16 v4, v52 offset:162
	ds_store_b16 v4, v80 offset:324
	;; [unrolled: 3-line block ×4, first 2 shown]
	ds_store_b16 v84, v57 offset:1458
	ds_store_b16 v84, v60 offset:1620
	ds_store_b16 v84, v77 offset:1782
	ds_store_b16 v85, v44
	ds_store_b16 v85, v50 offset:162
	ds_store_b16 v85, v76 offset:324
	ds_store_b16 v86, v53
	ds_store_b16 v86, v58 offset:162
	ds_store_b16 v86, v5 offset:324
	;; [unrolled: 3-line block ×3, first 2 shown]
	ds_store_b16 v88, v20 offset:2916
	ds_store_b16 v88, v16 offset:3078
	;; [unrolled: 1-line block ×3, first 2 shown]
	s_waitcnt lgkmcnt(0)
	s_barrier
	buffer_gl0_inv
	ds_load_u16 v44, v18
	ds_load_u16 v43, v18 offset:126
	ds_load_u16 v47, v18 offset:612
	;; [unrolled: 1-line block ×20, first 2 shown]
                                        ; implicit-def: $vgpr24
	s_and_saveexec_b32 s1, s0
	s_cbranch_execz .LBB0_15
; %bb.14:
	ds_load_u16 v15, v18 offset:378
	ds_load_u16 v19, v18 offset:864
	;; [unrolled: 1-line block ×7, first 2 shown]
.LBB0_15:
	s_or_b32 exec_lo, exec_lo, s1
	s_and_saveexec_b32 s1, vcc_lo
	s_cbranch_execz .LBB0_18
; %bb.16:
	v_mul_u32_u24_e32 v4, 6, v0
	v_mul_hi_u32 v18, 0x86d90545, v1
	v_add_co_u32 v2, vcc_lo, s8, v2
	v_add_co_ci_u32_e32 v3, vcc_lo, s9, v3, vcc_lo
	s_delay_alu instid0(VALU_DEP_4) | instskip(NEXT) | instid1(VALU_DEP_4)
	v_dual_mov_b32 v1, 0 :: v_dual_lshlrev_b32 v4, 2, v4
	v_lshrrev_b32_e32 v18, 7, v18
	s_delay_alu instid0(VALU_DEP_2)
	v_add_nc_u32_e32 v5, 0xbd0, v4
	s_clause 0x2
	global_load_b128 v[64:67], v4, s[4:5] offset:960
	global_load_b64 v[76:77], v4, s[4:5] offset:976
	global_load_b128 v[68:71], v5, s[4:5] offset:960
	v_dual_mov_b32 v83, v1 :: v_dual_add_nc_u32 v4, 0x5e8, v4
	s_clause 0x2
	global_load_b64 v[78:79], v5, s[4:5] offset:976
	global_load_b128 v[72:75], v4, s[4:5] offset:960
	global_load_b64 v[80:81], v4, s[4:5] offset:976
	v_mul_u32_u24_e32 v82, 0x5b2, v18
	v_lshlrev_b64 v[4:5], 2, v[0:1]
	s_delay_alu instid0(VALU_DEP_2) | instskip(NEXT) | instid1(VALU_DEP_2)
	v_lshlrev_b64 v[82:83], 2, v[82:83]
	v_add_co_u32 v2, vcc_lo, v2, v4
	s_delay_alu instid0(VALU_DEP_3) | instskip(NEXT) | instid1(VALU_DEP_2)
	v_add_co_ci_u32_e32 v3, vcc_lo, v3, v5, vcc_lo
	v_add_co_u32 v4, vcc_lo, 0x1000, v2
	s_delay_alu instid0(VALU_DEP_2)
	v_add_co_ci_u32_e32 v5, vcc_lo, 0, v3, vcc_lo
	v_add_co_u32 v82, vcc_lo, v2, v82
	v_add_co_ci_u32_e32 v83, vcc_lo, v3, v83, vcc_lo
	s_waitcnt vmcnt(5)
	v_lshrrev_b32_e32 v18, 16, v64
	v_lshrrev_b32_e32 v84, 16, v65
	v_lshrrev_b32_e32 v85, 16, v66
	v_lshrrev_b32_e32 v86, 16, v67
	s_waitcnt vmcnt(4)
	v_lshrrev_b32_e32 v87, 16, v76
	v_lshrrev_b32_e32 v88, 16, v77
	s_waitcnt vmcnt(3)
	v_lshrrev_b32_e32 v89, 16, v68
	v_lshrrev_b32_e32 v90, 16, v69
	v_lshrrev_b32_e32 v91, 16, v70
	v_lshrrev_b32_e32 v92, 16, v71
	s_waitcnt vmcnt(2)
	v_lshrrev_b32_e32 v93, 16, v78
	v_lshrrev_b32_e32 v94, 16, v79
	;; [unrolled: 8-line block ×3, first 2 shown]
	s_waitcnt lgkmcnt(11)
	v_mul_f16_e32 v101, v59, v18
	s_waitcnt lgkmcnt(1)
	v_mul_f16_e32 v102, v63, v88
	v_mul_f16_e32 v103, v61, v86
	;; [unrolled: 1-line block ×16, first 2 shown]
	s_waitcnt lgkmcnt(0)
	v_mul_f16_e32 v112, v58, v93
	v_mul_f16_e32 v94, v39, v94
	;; [unrolled: 1-line block ×19, first 2 shown]
	v_fmac_f16_e32 v101, v37, v64
	v_fmac_f16_e32 v102, v42, v77
	v_fmac_f16_e32 v103, v40, v67
	v_fmac_f16_e32 v104, v41, v66
	v_fmac_f16_e32 v105, v32, v65
	v_fmac_f16_e32 v106, v36, v76
	v_fma_f16 v32, v63, v77, -v88
	v_fma_f16 v18, v59, v64, -v18
	v_fma_f16 v40, v57, v76, -v87
	v_fma_f16 v41, v54, v65, -v84
	v_fma_f16 v36, v62, v66, -v85
	v_fma_f16 v37, v61, v67, -v86
	v_fmac_f16_e32 v107, v30, v68
	v_fmac_f16_e32 v108, v39, v79
	v_fmac_f16_e32 v109, v33, v71
	v_fmac_f16_e32 v110, v34, v70
	v_fmac_f16_e32 v111, v35, v69
	v_fmac_f16_e32 v112, v38, v78
	v_fma_f16 v30, v60, v79, -v94
	v_fma_f16 v33, v52, v68, -v89
	v_fma_f16 v34, v56, v70, -v91
	v_fma_f16 v35, v53, v71, -v92
	v_fma_f16 v38, v58, v78, -v93
	v_fma_f16 v39, v55, v69, -v90
	;; [unrolled: 12-line block ×3, first 2 shown]
	v_add_f16_e32 v48, v18, v32
	v_add_f16_e32 v50, v41, v40
	;; [unrolled: 1-line block ×4, first 2 shown]
	v_sub_f16_e32 v42, v101, v102
	v_sub_f16_e32 v46, v103, v104
	;; [unrolled: 1-line block ×3, first 2 shown]
	v_add_f16_e32 v49, v37, v36
	v_add_f16_e32 v52, v103, v104
	v_sub_f16_e32 v18, v18, v32
	v_sub_f16_e32 v32, v37, v36
	;; [unrolled: 1-line block ×6, first 2 shown]
	v_add_f16_e32 v54, v33, v30
	v_add_f16_e32 v55, v35, v34
	;; [unrolled: 1-line block ×6, first 2 shown]
	v_sub_f16_e32 v30, v33, v30
	v_sub_f16_e32 v33, v35, v34
	;; [unrolled: 1-line block ×3, first 2 shown]
	v_add_f16_e32 v60, v26, v25
	v_add_f16_e32 v61, v28, v27
	;; [unrolled: 1-line block ×6, first 2 shown]
	v_sub_f16_e32 v25, v26, v25
	v_sub_f16_e32 v26, v28, v27
	;; [unrolled: 1-line block ×3, first 2 shown]
	v_add_f16_e32 v67, v48, v50
	v_add_f16_e32 v70, v51, v53
	v_sub_f16_e32 v35, v113, v114
	v_sub_f16_e32 v38, v115, v116
	v_sub_f16_e32 v39, v117, v118
	v_sub_f16_e32 v28, v42, v46
	v_sub_f16_e32 v29, v46, v47
	v_add_f16_e32 v31, v46, v47
	v_sub_f16_e32 v46, v48, v49
	v_sub_f16_e32 v66, v49, v50
	v_sub_f16_e32 v68, v51, v52
	v_sub_f16_e32 v69, v52, v53
	v_sub_f16_e32 v71, v18, v32
	v_sub_f16_e32 v72, v32, v36
	v_add_f16_e32 v32, v32, v36
	v_sub_f16_e32 v47, v47, v42
	v_sub_f16_e32 v48, v50, v48
	v_sub_f16_e32 v50, v53, v51
	v_sub_f16_e32 v36, v36, v18
	v_sub_f16_e32 v51, v37, v40
	v_sub_f16_e32 v53, v40, v41
	v_add_f16_e32 v40, v40, v41
	v_sub_f16_e32 v74, v55, v56
	v_add_f16_e32 v75, v54, v56
	v_sub_f16_e32 v76, v57, v58
	v_sub_f16_e32 v77, v58, v59
	v_add_f16_e32 v78, v57, v59
	v_sub_f16_e32 v79, v30, v33
	v_sub_f16_e32 v80, v33, v34
	;; [unrolled: 3-line block ×3, first 2 shown]
	v_sub_f16_e32 v84, v61, v62
	v_add_f16_e32 v85, v60, v62
	v_sub_f16_e32 v87, v64, v65
	v_add_f16_e32 v88, v63, v65
	v_sub_f16_e32 v89, v25, v26
	v_sub_f16_e32 v90, v26, v27
	v_add_f16_e32 v26, v26, v27
	v_sub_f16_e32 v27, v27, v25
	v_add_f16_e32 v49, v49, v67
	v_add_f16_e32 v52, v52, v70
	v_sub_f16_e32 v73, v54, v55
	v_sub_f16_e32 v54, v56, v54
	;; [unrolled: 1-line block ×5, first 2 shown]
	v_add_f16_e32 v38, v38, v39
	v_sub_f16_e32 v39, v39, v35
	v_sub_f16_e32 v81, v60, v61
	;; [unrolled: 1-line block ×5, first 2 shown]
	v_mul_f16_e32 v29, 0x3846, v29
	v_add_f16_e32 v31, v42, v31
	v_mul_f16_e32 v42, 0x3a52, v46
	v_mul_f16_e32 v63, 0x2b26, v66
	;; [unrolled: 1-line block ×5, first 2 shown]
	v_add_f16_e32 v18, v18, v32
	v_mul_f16_e32 v32, 0xbb00, v47
	v_mul_f16_e32 v69, 0xbb00, v36
	;; [unrolled: 1-line block ×4, first 2 shown]
	v_add_f16_e32 v55, v55, v75
	v_mul_f16_e32 v72, 0x3a52, v76
	v_mul_f16_e32 v74, 0x2b26, v77
	v_add_f16_e32 v58, v58, v78
	v_mul_f16_e32 v75, 0x3846, v80
	v_add_f16_e32 v30, v30, v33
	v_mul_f16_e32 v33, 0xbb00, v41
	v_mul_f16_e32 v77, 0xbb00, v34
	v_mul_f16_e32 v78, 0x2b26, v84
	v_add_f16_e32 v61, v61, v85
	v_mul_f16_e32 v84, 0x2b26, v87
	v_add_f16_e32 v64, v64, v88
	v_mul_f16_e32 v85, 0x3846, v90
	v_mul_f16_e32 v87, 0xbb00, v27
	v_add_f16_e32 v44, v44, v49
	v_add_f16_e32 v22, v22, v52
	v_mul_f16_e32 v59, 0x3846, v59
	v_add_f16_e32 v25, v25, v26
	v_mul_f16_e32 v26, 0xbb00, v39
	;; [unrolled: 2-line block ×4, first 2 shown]
	v_mul_f16_e32 v80, 0x3a52, v86
	v_fmamk_f16 v88, v28, 0xb574, v29
	v_fmamk_f16 v46, v46, 0x3a52, v63
	;; [unrolled: 1-line block ×3, first 2 shown]
	v_fma_f16 v28, v28, 0x3574, -v32
	v_fma_f16 v32, v48, 0xb9e0, -v42
	;; [unrolled: 1-line block ×8, first 2 shown]
	v_fmamk_f16 v50, v51, 0xb574, v53
	v_fmamk_f16 v63, v73, 0x3a52, v70
	v_add_f16_e32 v45, v45, v55
	v_add_f16_e32 v23, v23, v58
	v_fmamk_f16 v67, v79, 0xb574, v75
	v_fma_f16 v33, v51, 0x3574, -v33
	v_fma_f16 v51, v56, 0xb9e0, -v72
	;; [unrolled: 1-line block ×5, first 2 shown]
	v_add_f16_e32 v43, v43, v61
	v_add_f16_e32 v21, v21, v64
	v_fmamk_f16 v72, v89, 0xb574, v85
	v_fma_f16 v73, v89, 0x3574, -v87
	v_fma_f16 v27, v27, 0xbb00, -v85
	v_fmamk_f16 v49, v49, 0xbcab, v44
	v_fmamk_f16 v52, v52, 0xbcab, v22
	v_fmamk_f16 v68, v68, 0x3a52, v66
	v_fma_f16 v53, v56, 0x39e0, -v74
	v_fmamk_f16 v56, v57, 0xb574, v59
	v_fma_f16 v26, v57, 0x3574, -v26
	v_fma_f16 v39, v39, 0xbb00, -v59
	v_fmamk_f16 v66, v76, 0x3a52, v74
	v_fma_f16 v40, v54, 0xb9e0, -v40
	v_fma_f16 v54, v54, 0x39e0, -v70
	v_fmamk_f16 v70, v81, 0x3a52, v78
	v_fmamk_f16 v71, v86, 0x3a52, v84
	v_fma_f16 v38, v60, 0xb9e0, -v38
	v_fma_f16 v57, v62, 0xb9e0, -v80
	;; [unrolled: 1-line block ×3, first 2 shown]
	v_fmac_f16_e32 v88, 0xb70e, v31
	v_fmac_f16_e32 v90, 0xb70e, v18
	;; [unrolled: 1-line block ×6, first 2 shown]
	v_pack_b32_f16 v18, v22, v44
	v_fmac_f16_e32 v50, 0xb70e, v37
	v_fmamk_f16 v22, v55, 0xbcab, v45
	v_fmamk_f16 v31, v58, 0xbcab, v23
	v_fmac_f16_e32 v67, 0xb70e, v30
	v_fmac_f16_e32 v33, 0xb70e, v37
	;; [unrolled: 1-line block ×5, first 2 shown]
	v_fmamk_f16 v30, v61, 0xbcab, v43
	v_fmamk_f16 v37, v64, 0xbcab, v21
	v_fmac_f16_e32 v72, 0xb70e, v25
	v_fmac_f16_e32 v73, 0xb70e, v25
	;; [unrolled: 1-line block ×3, first 2 shown]
	v_add_f16_e32 v25, v46, v49
	v_add_f16_e32 v32, v32, v49
	;; [unrolled: 1-line block ×5, first 2 shown]
	v_fma_f16 v59, v62, 0x39e0, -v84
	v_fmac_f16_e32 v56, 0xb70e, v35
	v_fmac_f16_e32 v26, 0xb70e, v35
	;; [unrolled: 1-line block ×3, first 2 shown]
	v_add_f16_e32 v35, v68, v52
	v_pack_b32_f16 v21, v21, v43
	global_store_b32 v[2:3], v18, off
	v_add_f16_e32 v18, v63, v22
	v_add_f16_e32 v43, v66, v31
	;; [unrolled: 1-line block ×12, first 2 shown]
	v_sub_f16_e32 v57, v44, v29
	v_add_f16_e32 v58, v36, v46
	v_sub_f16_e32 v28, v32, v28
	v_add_f16_e32 v32, v65, v42
	v_add_f16_e32 v37, v59, v37
	;; [unrolled: 1-line block ×3, first 2 shown]
	v_sub_f16_e32 v53, v35, v90
	v_sub_f16_e32 v25, v25, v88
	v_add_f16_e32 v35, v90, v35
	v_sub_f16_e32 v59, v47, v69
	v_add_f16_e32 v61, v34, v31
	;; [unrolled: 2-line block ×3, first 2 shown]
	v_add_f16_e32 v47, v26, v38
	v_sub_f16_e32 v62, v30, v39
	v_add_f16_e32 v30, v39, v30
	v_sub_f16_e32 v26, v38, v26
	v_sub_f16_e32 v38, v48, v56
	v_add_f16_e32 v39, v72, v49
	v_pack_b32_f16 v28, v32, v28
	v_pack_b32_f16 v32, v58, v57
	v_add_f16_e32 v63, v27, v37
	v_sub_f16_e32 v27, v37, v27
	v_add_f16_e32 v37, v73, v51
	v_pack_b32_f16 v25, v35, v25
	v_add_f16_e32 v29, v29, v44
	v_sub_f16_e32 v36, v46, v36
	v_sub_f16_e32 v44, v43, v67
	v_add_f16_e32 v46, v33, v40
	v_sub_f16_e32 v60, v22, v41
	v_add_f16_e32 v41, v41, v22
	;; [unrolled: 2-line block ×3, first 2 shown]
	v_add_f16_e32 v22, v56, v48
	v_sub_f16_e32 v43, v49, v72
	v_sub_f16_e32 v55, v42, v65
	v_add_f16_e32 v42, v50, v18
	v_sub_f16_e32 v18, v18, v50
	v_sub_f16_e32 v50, v51, v73
	global_store_b32 v[2:3], v32, off offset:3888
	v_pack_b32_f16 v32, v39, v38
	s_clause 0x1
	global_store_b32 v[2:3], v25, off offset:972
	global_store_b32 v[2:3], v21, off offset:252
	v_pack_b32_f16 v21, v37, v26
	v_pack_b32_f16 v29, v36, v29
	;; [unrolled: 1-line block ×8, first 2 shown]
	s_clause 0x7
	global_store_b32 v[2:3], v28, off offset:1944
	global_store_b32 v[2:3], v32, off offset:1224
	;; [unrolled: 1-line block ×8, first 2 shown]
	v_add_co_u32 v21, vcc_lo, 0x1000, v82
	v_pack_b32_f16 v23, v23, v45
	v_add_co_ci_u32_e32 v22, vcc_lo, 0, v83, vcc_lo
	v_pack_b32_f16 v18, v40, v18
	s_clause 0x1
	global_store_b32 v[4:5], v36, off offset:1736
	global_store_b32 v[4:5], v27, off offset:1988
	v_add_co_u32 v25, vcc_lo, 0x1f8, v82
	v_pack_b32_f16 v27, v34, v33
	v_pack_b32_f16 v29, v31, v41
	v_add_co_ci_u32_e32 v26, vcc_lo, 0, v83, vcc_lo
	v_pack_b32_f16 v30, v61, v60
	v_pack_b32_f16 v28, v44, v42
	;; [unrolled: 1-line block ×3, first 2 shown]
	s_clause 0x6
	global_store_b32 v[82:83], v23, off offset:504
	global_store_b32 v[82:83], v18, off offset:1476
	;; [unrolled: 1-line block ×7, first 2 shown]
	s_and_b32 exec_lo, exec_lo, s0
	s_cbranch_execz .LBB0_18
; %bb.17:
	v_subrev_nc_u32_e32 v0, 54, v0
	s_delay_alu instid0(VALU_DEP_1) | instskip(NEXT) | instid1(VALU_DEP_1)
	v_cndmask_b32_e64 v0, v0, v17, s0
	v_mul_i32_i24_e32 v0, 6, v0
	s_delay_alu instid0(VALU_DEP_1) | instskip(NEXT) | instid1(VALU_DEP_1)
	v_lshlrev_b64 v[0:1], 2, v[0:1]
	v_add_co_u32 v0, vcc_lo, s4, v0
	s_delay_alu instid0(VALU_DEP_2)
	v_add_co_ci_u32_e32 v1, vcc_lo, s5, v1, vcc_lo
	s_clause 0x1
	global_load_b128 v[25:28], v[0:1], off offset:960
	global_load_b64 v[0:1], v[0:1], off offset:976
	s_waitcnt vmcnt(1)
	v_lshrrev_b32_e32 v17, 16, v25
	v_lshrrev_b32_e32 v18, 16, v26
	s_waitcnt vmcnt(0)
	v_lshrrev_b32_e32 v23, 16, v0
	v_lshrrev_b32_e32 v29, 16, v1
	;; [unrolled: 1-line block ×4, first 2 shown]
	v_mul_f16_e32 v30, v19, v17
	v_mul_f16_e32 v17, v10, v17
	;; [unrolled: 1-line block ×12, first 2 shown]
	v_fmac_f16_e32 v30, v10, v25
	v_fma_f16 v10, v19, v25, -v17
	v_fmac_f16_e32 v31, v6, v26
	v_fma_f16 v6, v12, v26, -v18
	;; [unrolled: 2-line block ×6, first 2 shown]
	v_add_f16_e32 v7, v30, v35
	v_add_f16_e32 v8, v10, v1
	v_sub_f16_e32 v1, v10, v1
	v_add_f16_e32 v10, v31, v34
	v_add_f16_e32 v14, v6, v0
	v_sub_f16_e32 v16, v31, v34
	v_sub_f16_e32 v0, v6, v0
	v_add_f16_e32 v6, v32, v33
	v_add_f16_e32 v17, v12, v9
	v_sub_f16_e32 v18, v33, v32
	;; [unrolled: 4-line block ×3, first 2 shown]
	v_sub_f16_e32 v20, v10, v7
	v_sub_f16_e32 v21, v14, v8
	;; [unrolled: 1-line block ×6, first 2 shown]
	v_add_f16_e32 v22, v18, v16
	v_add_f16_e32 v23, v9, v0
	v_sub_f16_e32 v24, v18, v16
	v_sub_f16_e32 v25, v9, v0
	;; [unrolled: 1-line block ×3, first 2 shown]
	v_add_f16_e32 v6, v6, v12
	v_add_f16_e32 v12, v17, v19
	v_sub_f16_e32 v16, v16, v13
	v_sub_f16_e32 v18, v13, v18
	;; [unrolled: 1-line block ×3, first 2 shown]
	v_add_f16_e32 v13, v22, v13
	v_add_f16_e32 v1, v23, v1
	v_mul_f16_e32 v7, 0x3a52, v7
	v_mul_f16_e32 v8, 0x3a52, v8
	;; [unrolled: 1-line block ×7, first 2 shown]
	v_add_f16_e32 v11, v11, v6
	v_add_f16_e32 v15, v15, v12
	v_mul_f16_e32 v24, 0xbb00, v16
	v_fmamk_f16 v10, v10, 0x2b26, v7
	v_fmamk_f16 v14, v14, 0x2b26, v8
	v_fma_f16 v17, v20, 0x39e0, -v17
	v_fma_f16 v19, v21, 0x39e0, -v19
	;; [unrolled: 1-line block ×4, first 2 shown]
	v_fmamk_f16 v20, v18, 0xb574, v22
	v_fmamk_f16 v21, v9, 0xb574, v23
	v_fma_f16 v0, v0, 0xbb00, -v23
	v_fma_f16 v9, v9, 0x3574, -v25
	v_fmamk_f16 v6, v6, 0xbcab, v11
	v_fmamk_f16 v12, v12, 0xbcab, v15
	v_fma_f16 v16, v16, 0xbb00, -v22
	v_fma_f16 v18, v18, 0x3574, -v24
	v_fmac_f16_e32 v20, 0xb70e, v13
	v_fmac_f16_e32 v21, 0xb70e, v1
	;; [unrolled: 1-line block ×4, first 2 shown]
	v_pack_b32_f16 v1, v11, v15
	v_add_f16_e32 v10, v10, v6
	v_add_f16_e32 v11, v14, v12
	v_fmac_f16_e32 v16, 0xb70e, v13
	v_fmac_f16_e32 v18, 0xb70e, v13
	v_add_f16_e32 v13, v17, v6
	v_add_f16_e32 v6, v7, v6
	;; [unrolled: 1-line block ×5, first 2 shown]
	v_sub_f16_e32 v14, v11, v20
	v_add_f16_e32 v15, v9, v6
	v_sub_f16_e32 v17, v7, v18
	v_sub_f16_e32 v19, v13, v0
	v_add_f16_e32 v22, v16, v8
	v_add_f16_e32 v0, v0, v13
	v_sub_f16_e32 v8, v8, v16
	v_sub_f16_e32 v6, v6, v9
	v_add_f16_e32 v7, v18, v7
	v_sub_f16_e32 v9, v10, v21
	v_add_f16_e32 v10, v20, v11
	v_pack_b32_f16 v11, v12, v14
	v_pack_b32_f16 v12, v15, v17
	;; [unrolled: 1-line block ×6, first 2 shown]
	s_clause 0x6
	global_store_b32 v[2:3], v1, off offset:756
	global_store_b32 v[2:3], v11, off offset:1728
	;; [unrolled: 1-line block ×7, first 2 shown]
.LBB0_18:
	s_nop 0
	s_sendmsg sendmsg(MSG_DEALLOC_VGPRS)
	s_endpgm
	.section	.rodata,"a",@progbits
	.p2align	6, 0x0
	.amdhsa_kernel fft_rtc_back_len1701_factors_3_3_3_3_3_7_wgs_63_tpt_63_halfLds_half_ip_CI_unitstride_sbrr_dirReg
		.amdhsa_group_segment_fixed_size 0
		.amdhsa_private_segment_fixed_size 0
		.amdhsa_kernarg_size 88
		.amdhsa_user_sgpr_count 15
		.amdhsa_user_sgpr_dispatch_ptr 0
		.amdhsa_user_sgpr_queue_ptr 0
		.amdhsa_user_sgpr_kernarg_segment_ptr 1
		.amdhsa_user_sgpr_dispatch_id 0
		.amdhsa_user_sgpr_private_segment_size 0
		.amdhsa_wavefront_size32 1
		.amdhsa_uses_dynamic_stack 0
		.amdhsa_enable_private_segment 0
		.amdhsa_system_sgpr_workgroup_id_x 1
		.amdhsa_system_sgpr_workgroup_id_y 0
		.amdhsa_system_sgpr_workgroup_id_z 0
		.amdhsa_system_sgpr_workgroup_info 0
		.amdhsa_system_vgpr_workitem_id 0
		.amdhsa_next_free_vgpr 119
		.amdhsa_next_free_sgpr 21
		.amdhsa_reserve_vcc 1
		.amdhsa_float_round_mode_32 0
		.amdhsa_float_round_mode_16_64 0
		.amdhsa_float_denorm_mode_32 3
		.amdhsa_float_denorm_mode_16_64 3
		.amdhsa_dx10_clamp 1
		.amdhsa_ieee_mode 1
		.amdhsa_fp16_overflow 0
		.amdhsa_workgroup_processor_mode 1
		.amdhsa_memory_ordered 1
		.amdhsa_forward_progress 0
		.amdhsa_shared_vgpr_count 0
		.amdhsa_exception_fp_ieee_invalid_op 0
		.amdhsa_exception_fp_denorm_src 0
		.amdhsa_exception_fp_ieee_div_zero 0
		.amdhsa_exception_fp_ieee_overflow 0
		.amdhsa_exception_fp_ieee_underflow 0
		.amdhsa_exception_fp_ieee_inexact 0
		.amdhsa_exception_int_div_zero 0
	.end_amdhsa_kernel
	.text
.Lfunc_end0:
	.size	fft_rtc_back_len1701_factors_3_3_3_3_3_7_wgs_63_tpt_63_halfLds_half_ip_CI_unitstride_sbrr_dirReg, .Lfunc_end0-fft_rtc_back_len1701_factors_3_3_3_3_3_7_wgs_63_tpt_63_halfLds_half_ip_CI_unitstride_sbrr_dirReg
                                        ; -- End function
	.section	.AMDGPU.csdata,"",@progbits
; Kernel info:
; codeLenInByte = 18180
; NumSgprs: 23
; NumVgprs: 119
; ScratchSize: 0
; MemoryBound: 0
; FloatMode: 240
; IeeeMode: 1
; LDSByteSize: 0 bytes/workgroup (compile time only)
; SGPRBlocks: 2
; VGPRBlocks: 14
; NumSGPRsForWavesPerEU: 23
; NumVGPRsForWavesPerEU: 119
; Occupancy: 12
; WaveLimiterHint : 1
; COMPUTE_PGM_RSRC2:SCRATCH_EN: 0
; COMPUTE_PGM_RSRC2:USER_SGPR: 15
; COMPUTE_PGM_RSRC2:TRAP_HANDLER: 0
; COMPUTE_PGM_RSRC2:TGID_X_EN: 1
; COMPUTE_PGM_RSRC2:TGID_Y_EN: 0
; COMPUTE_PGM_RSRC2:TGID_Z_EN: 0
; COMPUTE_PGM_RSRC2:TIDIG_COMP_CNT: 0
	.text
	.p2alignl 7, 3214868480
	.fill 96, 4, 3214868480
	.type	__hip_cuid_db4f1c2564d2989c,@object ; @__hip_cuid_db4f1c2564d2989c
	.section	.bss,"aw",@nobits
	.globl	__hip_cuid_db4f1c2564d2989c
__hip_cuid_db4f1c2564d2989c:
	.byte	0                               ; 0x0
	.size	__hip_cuid_db4f1c2564d2989c, 1

	.ident	"AMD clang version 19.0.0git (https://github.com/RadeonOpenCompute/llvm-project roc-6.4.0 25133 c7fe45cf4b819c5991fe208aaa96edf142730f1d)"
	.section	".note.GNU-stack","",@progbits
	.addrsig
	.addrsig_sym __hip_cuid_db4f1c2564d2989c
	.amdgpu_metadata
---
amdhsa.kernels:
  - .args:
      - .actual_access:  read_only
        .address_space:  global
        .offset:         0
        .size:           8
        .value_kind:     global_buffer
      - .offset:         8
        .size:           8
        .value_kind:     by_value
      - .actual_access:  read_only
        .address_space:  global
        .offset:         16
        .size:           8
        .value_kind:     global_buffer
      - .actual_access:  read_only
        .address_space:  global
        .offset:         24
        .size:           8
        .value_kind:     global_buffer
      - .offset:         32
        .size:           8
        .value_kind:     by_value
      - .actual_access:  read_only
        .address_space:  global
        .offset:         40
        .size:           8
        .value_kind:     global_buffer
      - .actual_access:  read_only
        .address_space:  global
        .offset:         48
        .size:           8
        .value_kind:     global_buffer
      - .offset:         56
        .size:           4
        .value_kind:     by_value
      - .actual_access:  read_only
        .address_space:  global
        .offset:         64
        .size:           8
        .value_kind:     global_buffer
      - .actual_access:  read_only
        .address_space:  global
        .offset:         72
        .size:           8
        .value_kind:     global_buffer
      - .address_space:  global
        .offset:         80
        .size:           8
        .value_kind:     global_buffer
    .group_segment_fixed_size: 0
    .kernarg_segment_align: 8
    .kernarg_segment_size: 88
    .language:       OpenCL C
    .language_version:
      - 2
      - 0
    .max_flat_workgroup_size: 63
    .name:           fft_rtc_back_len1701_factors_3_3_3_3_3_7_wgs_63_tpt_63_halfLds_half_ip_CI_unitstride_sbrr_dirReg
    .private_segment_fixed_size: 0
    .sgpr_count:     23
    .sgpr_spill_count: 0
    .symbol:         fft_rtc_back_len1701_factors_3_3_3_3_3_7_wgs_63_tpt_63_halfLds_half_ip_CI_unitstride_sbrr_dirReg.kd
    .uniform_work_group_size: 1
    .uses_dynamic_stack: false
    .vgpr_count:     119
    .vgpr_spill_count: 0
    .wavefront_size: 32
    .workgroup_processor_mode: 1
amdhsa.target:   amdgcn-amd-amdhsa--gfx1100
amdhsa.version:
  - 1
  - 2
...

	.end_amdgpu_metadata
